;; amdgpu-corpus repo=ROCm/rocFFT kind=compiled arch=gfx1201 opt=O3
	.text
	.amdgcn_target "amdgcn-amd-amdhsa--gfx1201"
	.amdhsa_code_object_version 6
	.protected	fft_rtc_back_len2430_factors_10_3_3_3_3_3_wgs_81_tpt_81_halfLds_sp_ip_CI_unitstride_sbrr_dirReg ; -- Begin function fft_rtc_back_len2430_factors_10_3_3_3_3_3_wgs_81_tpt_81_halfLds_sp_ip_CI_unitstride_sbrr_dirReg
	.globl	fft_rtc_back_len2430_factors_10_3_3_3_3_3_wgs_81_tpt_81_halfLds_sp_ip_CI_unitstride_sbrr_dirReg
	.p2align	8
	.type	fft_rtc_back_len2430_factors_10_3_3_3_3_3_wgs_81_tpt_81_halfLds_sp_ip_CI_unitstride_sbrr_dirReg,@function
fft_rtc_back_len2430_factors_10_3_3_3_3_3_wgs_81_tpt_81_halfLds_sp_ip_CI_unitstride_sbrr_dirReg: ; @fft_rtc_back_len2430_factors_10_3_3_3_3_3_wgs_81_tpt_81_halfLds_sp_ip_CI_unitstride_sbrr_dirReg
; %bb.0:
	s_clause 0x2
	s_load_b128 s[4:7], s[0:1], 0x0
	s_load_b64 s[8:9], s[0:1], 0x50
	s_load_b64 s[10:11], s[0:1], 0x18
	v_mul_u32_u24_e32 v1, 0x32a, v0
	v_mov_b32_e32 v3, 0
	s_delay_alu instid0(VALU_DEP_2) | instskip(NEXT) | instid1(VALU_DEP_1)
	v_lshrrev_b32_e32 v1, 16, v1
	v_add_nc_u32_e32 v5, ttmp9, v1
	v_mov_b32_e32 v1, 0
	v_mov_b32_e32 v2, 0
	;; [unrolled: 1-line block ×3, first 2 shown]
	s_wait_kmcnt 0x0
	v_cmp_lt_u64_e64 s2, s[6:7], 2
	s_delay_alu instid0(VALU_DEP_1)
	s_and_b32 vcc_lo, exec_lo, s2
	s_cbranch_vccnz .LBB0_8
; %bb.1:
	s_load_b64 s[2:3], s[0:1], 0x10
	v_mov_b32_e32 v1, 0
	v_mov_b32_e32 v2, 0
	s_add_nc_u64 s[12:13], s[10:11], 8
	s_mov_b64 s[14:15], 1
	s_wait_kmcnt 0x0
	s_add_nc_u64 s[16:17], s[2:3], 8
	s_mov_b32 s3, 0
.LBB0_2:                                ; =>This Inner Loop Header: Depth=1
	s_load_b64 s[18:19], s[16:17], 0x0
                                        ; implicit-def: $vgpr7_vgpr8
	s_mov_b32 s2, exec_lo
	s_wait_kmcnt 0x0
	v_or_b32_e32 v4, s19, v6
	s_delay_alu instid0(VALU_DEP_1)
	v_cmpx_ne_u64_e32 0, v[3:4]
	s_wait_alu 0xfffe
	s_xor_b32 s20, exec_lo, s2
	s_cbranch_execz .LBB0_4
; %bb.3:                                ;   in Loop: Header=BB0_2 Depth=1
	s_cvt_f32_u32 s2, s18
	s_cvt_f32_u32 s21, s19
	s_sub_nc_u64 s[24:25], 0, s[18:19]
	s_wait_alu 0xfffe
	s_delay_alu instid0(SALU_CYCLE_1) | instskip(SKIP_1) | instid1(SALU_CYCLE_2)
	s_fmamk_f32 s2, s21, 0x4f800000, s2
	s_wait_alu 0xfffe
	v_s_rcp_f32 s2, s2
	s_delay_alu instid0(TRANS32_DEP_1) | instskip(SKIP_1) | instid1(SALU_CYCLE_2)
	s_mul_f32 s2, s2, 0x5f7ffffc
	s_wait_alu 0xfffe
	s_mul_f32 s21, s2, 0x2f800000
	s_wait_alu 0xfffe
	s_delay_alu instid0(SALU_CYCLE_2) | instskip(SKIP_1) | instid1(SALU_CYCLE_2)
	s_trunc_f32 s21, s21
	s_wait_alu 0xfffe
	s_fmamk_f32 s2, s21, 0xcf800000, s2
	s_cvt_u32_f32 s23, s21
	s_wait_alu 0xfffe
	s_delay_alu instid0(SALU_CYCLE_1) | instskip(SKIP_1) | instid1(SALU_CYCLE_2)
	s_cvt_u32_f32 s22, s2
	s_wait_alu 0xfffe
	s_mul_u64 s[26:27], s[24:25], s[22:23]
	s_wait_alu 0xfffe
	s_mul_hi_u32 s29, s22, s27
	s_mul_i32 s28, s22, s27
	s_mul_hi_u32 s2, s22, s26
	s_mul_i32 s30, s23, s26
	s_wait_alu 0xfffe
	s_add_nc_u64 s[28:29], s[2:3], s[28:29]
	s_mul_hi_u32 s21, s23, s26
	s_mul_hi_u32 s31, s23, s27
	s_add_co_u32 s2, s28, s30
	s_wait_alu 0xfffe
	s_add_co_ci_u32 s2, s29, s21
	s_mul_i32 s26, s23, s27
	s_add_co_ci_u32 s27, s31, 0
	s_wait_alu 0xfffe
	s_add_nc_u64 s[26:27], s[2:3], s[26:27]
	s_wait_alu 0xfffe
	v_add_co_u32 v4, s2, s22, s26
	s_delay_alu instid0(VALU_DEP_1) | instskip(SKIP_1) | instid1(VALU_DEP_1)
	s_cmp_lg_u32 s2, 0
	s_add_co_ci_u32 s23, s23, s27
	v_readfirstlane_b32 s22, v4
	s_wait_alu 0xfffe
	s_delay_alu instid0(VALU_DEP_1)
	s_mul_u64 s[24:25], s[24:25], s[22:23]
	s_wait_alu 0xfffe
	s_mul_hi_u32 s27, s22, s25
	s_mul_i32 s26, s22, s25
	s_mul_hi_u32 s2, s22, s24
	s_mul_i32 s28, s23, s24
	s_wait_alu 0xfffe
	s_add_nc_u64 s[26:27], s[2:3], s[26:27]
	s_mul_hi_u32 s21, s23, s24
	s_mul_hi_u32 s22, s23, s25
	s_wait_alu 0xfffe
	s_add_co_u32 s2, s26, s28
	s_add_co_ci_u32 s2, s27, s21
	s_mul_i32 s24, s23, s25
	s_add_co_ci_u32 s25, s22, 0
	s_wait_alu 0xfffe
	s_add_nc_u64 s[24:25], s[2:3], s[24:25]
	s_wait_alu 0xfffe
	v_add_co_u32 v4, s2, v4, s24
	s_delay_alu instid0(VALU_DEP_1) | instskip(SKIP_1) | instid1(VALU_DEP_1)
	s_cmp_lg_u32 s2, 0
	s_add_co_ci_u32 s2, s23, s25
	v_mul_hi_u32 v13, v5, v4
	s_wait_alu 0xfffe
	v_mad_co_u64_u32 v[7:8], null, v5, s2, 0
	v_mad_co_u64_u32 v[9:10], null, v6, v4, 0
	;; [unrolled: 1-line block ×3, first 2 shown]
	s_delay_alu instid0(VALU_DEP_3) | instskip(SKIP_1) | instid1(VALU_DEP_4)
	v_add_co_u32 v4, vcc_lo, v13, v7
	s_wait_alu 0xfffd
	v_add_co_ci_u32_e32 v7, vcc_lo, 0, v8, vcc_lo
	s_delay_alu instid0(VALU_DEP_2) | instskip(SKIP_1) | instid1(VALU_DEP_2)
	v_add_co_u32 v4, vcc_lo, v4, v9
	s_wait_alu 0xfffd
	v_add_co_ci_u32_e32 v4, vcc_lo, v7, v10, vcc_lo
	s_wait_alu 0xfffd
	v_add_co_ci_u32_e32 v7, vcc_lo, 0, v12, vcc_lo
	s_delay_alu instid0(VALU_DEP_2) | instskip(SKIP_1) | instid1(VALU_DEP_2)
	v_add_co_u32 v4, vcc_lo, v4, v11
	s_wait_alu 0xfffd
	v_add_co_ci_u32_e32 v9, vcc_lo, 0, v7, vcc_lo
	s_delay_alu instid0(VALU_DEP_2) | instskip(SKIP_1) | instid1(VALU_DEP_3)
	v_mul_lo_u32 v10, s19, v4
	v_mad_co_u64_u32 v[7:8], null, s18, v4, 0
	v_mul_lo_u32 v11, s18, v9
	s_delay_alu instid0(VALU_DEP_2) | instskip(NEXT) | instid1(VALU_DEP_2)
	v_sub_co_u32 v7, vcc_lo, v5, v7
	v_add3_u32 v8, v8, v11, v10
	s_delay_alu instid0(VALU_DEP_1) | instskip(SKIP_1) | instid1(VALU_DEP_1)
	v_sub_nc_u32_e32 v10, v6, v8
	s_wait_alu 0xfffd
	v_subrev_co_ci_u32_e64 v10, s2, s19, v10, vcc_lo
	v_add_co_u32 v11, s2, v4, 2
	s_wait_alu 0xf1ff
	v_add_co_ci_u32_e64 v12, s2, 0, v9, s2
	v_sub_co_u32 v13, s2, v7, s18
	v_sub_co_ci_u32_e32 v8, vcc_lo, v6, v8, vcc_lo
	s_wait_alu 0xf1ff
	v_subrev_co_ci_u32_e64 v10, s2, 0, v10, s2
	s_delay_alu instid0(VALU_DEP_3) | instskip(NEXT) | instid1(VALU_DEP_3)
	v_cmp_le_u32_e32 vcc_lo, s18, v13
	v_cmp_eq_u32_e64 s2, s19, v8
	s_wait_alu 0xfffd
	v_cndmask_b32_e64 v13, 0, -1, vcc_lo
	v_cmp_le_u32_e32 vcc_lo, s19, v10
	s_wait_alu 0xfffd
	v_cndmask_b32_e64 v14, 0, -1, vcc_lo
	v_cmp_le_u32_e32 vcc_lo, s18, v7
	;; [unrolled: 3-line block ×3, first 2 shown]
	s_wait_alu 0xfffd
	v_cndmask_b32_e64 v15, 0, -1, vcc_lo
	v_cmp_eq_u32_e32 vcc_lo, s19, v10
	s_wait_alu 0xf1ff
	s_delay_alu instid0(VALU_DEP_2)
	v_cndmask_b32_e64 v7, v15, v7, s2
	s_wait_alu 0xfffd
	v_cndmask_b32_e32 v10, v14, v13, vcc_lo
	v_add_co_u32 v13, vcc_lo, v4, 1
	s_wait_alu 0xfffd
	v_add_co_ci_u32_e32 v14, vcc_lo, 0, v9, vcc_lo
	s_delay_alu instid0(VALU_DEP_3) | instskip(SKIP_2) | instid1(VALU_DEP_3)
	v_cmp_ne_u32_e32 vcc_lo, 0, v10
	s_wait_alu 0xfffd
	v_cndmask_b32_e32 v10, v13, v11, vcc_lo
	v_cndmask_b32_e32 v8, v14, v12, vcc_lo
	v_cmp_ne_u32_e32 vcc_lo, 0, v7
	s_wait_alu 0xfffd
	s_delay_alu instid0(VALU_DEP_2)
	v_dual_cndmask_b32 v7, v4, v10 :: v_dual_cndmask_b32 v8, v9, v8
.LBB0_4:                                ;   in Loop: Header=BB0_2 Depth=1
	s_wait_alu 0xfffe
	s_and_not1_saveexec_b32 s2, s20
	s_cbranch_execz .LBB0_6
; %bb.5:                                ;   in Loop: Header=BB0_2 Depth=1
	v_cvt_f32_u32_e32 v4, s18
	s_sub_co_i32 s20, 0, s18
	s_delay_alu instid0(VALU_DEP_1) | instskip(NEXT) | instid1(TRANS32_DEP_1)
	v_rcp_iflag_f32_e32 v4, v4
	v_mul_f32_e32 v4, 0x4f7ffffe, v4
	s_delay_alu instid0(VALU_DEP_1) | instskip(SKIP_1) | instid1(VALU_DEP_1)
	v_cvt_u32_f32_e32 v4, v4
	s_wait_alu 0xfffe
	v_mul_lo_u32 v7, s20, v4
	s_delay_alu instid0(VALU_DEP_1) | instskip(NEXT) | instid1(VALU_DEP_1)
	v_mul_hi_u32 v7, v4, v7
	v_add_nc_u32_e32 v4, v4, v7
	s_delay_alu instid0(VALU_DEP_1) | instskip(NEXT) | instid1(VALU_DEP_1)
	v_mul_hi_u32 v4, v5, v4
	v_mul_lo_u32 v7, v4, s18
	v_add_nc_u32_e32 v8, 1, v4
	s_delay_alu instid0(VALU_DEP_2) | instskip(NEXT) | instid1(VALU_DEP_1)
	v_sub_nc_u32_e32 v7, v5, v7
	v_subrev_nc_u32_e32 v9, s18, v7
	v_cmp_le_u32_e32 vcc_lo, s18, v7
	s_wait_alu 0xfffd
	s_delay_alu instid0(VALU_DEP_2) | instskip(NEXT) | instid1(VALU_DEP_1)
	v_dual_cndmask_b32 v7, v7, v9 :: v_dual_cndmask_b32 v4, v4, v8
	v_cmp_le_u32_e32 vcc_lo, s18, v7
	s_delay_alu instid0(VALU_DEP_2) | instskip(SKIP_1) | instid1(VALU_DEP_1)
	v_add_nc_u32_e32 v8, 1, v4
	s_wait_alu 0xfffd
	v_dual_cndmask_b32 v7, v4, v8 :: v_dual_mov_b32 v8, v3
.LBB0_6:                                ;   in Loop: Header=BB0_2 Depth=1
	s_wait_alu 0xfffe
	s_or_b32 exec_lo, exec_lo, s2
	s_load_b64 s[20:21], s[12:13], 0x0
	s_delay_alu instid0(VALU_DEP_1)
	v_mul_lo_u32 v4, v8, s18
	v_mul_lo_u32 v11, v7, s19
	v_mad_co_u64_u32 v[9:10], null, v7, s18, 0
	s_add_nc_u64 s[14:15], s[14:15], 1
	s_add_nc_u64 s[12:13], s[12:13], 8
	s_wait_alu 0xfffe
	v_cmp_ge_u64_e64 s2, s[14:15], s[6:7]
	s_add_nc_u64 s[16:17], s[16:17], 8
	s_delay_alu instid0(VALU_DEP_2) | instskip(NEXT) | instid1(VALU_DEP_3)
	v_add3_u32 v4, v10, v11, v4
	v_sub_co_u32 v5, vcc_lo, v5, v9
	s_wait_alu 0xfffd
	s_delay_alu instid0(VALU_DEP_2) | instskip(SKIP_3) | instid1(VALU_DEP_2)
	v_sub_co_ci_u32_e32 v4, vcc_lo, v6, v4, vcc_lo
	s_and_b32 vcc_lo, exec_lo, s2
	s_wait_kmcnt 0x0
	v_mul_lo_u32 v6, s21, v5
	v_mul_lo_u32 v4, s20, v4
	v_mad_co_u64_u32 v[1:2], null, s20, v5, v[1:2]
	s_delay_alu instid0(VALU_DEP_1)
	v_add3_u32 v2, v6, v2, v4
	s_wait_alu 0xfffe
	s_cbranch_vccnz .LBB0_9
; %bb.7:                                ;   in Loop: Header=BB0_2 Depth=1
	v_dual_mov_b32 v5, v7 :: v_dual_mov_b32 v6, v8
	s_branch .LBB0_2
.LBB0_8:
	v_dual_mov_b32 v8, v6 :: v_dual_mov_b32 v7, v5
.LBB0_9:
	s_lshl_b64 s[2:3], s[6:7], 3
	v_mul_hi_u32 v5, 0x3291620, v0
	s_wait_alu 0xfffe
	s_add_nc_u64 s[2:3], s[10:11], s[2:3]
                                        ; implicit-def: $vgpr9
                                        ; implicit-def: $vgpr23
                                        ; implicit-def: $vgpr11
                                        ; implicit-def: $vgpr21
                                        ; implicit-def: $vgpr13
                                        ; implicit-def: $vgpr19
                                        ; implicit-def: $vgpr15
                                        ; implicit-def: $vgpr17
                                        ; implicit-def: $vgpr41
                                        ; implicit-def: $vgpr63
                                        ; implicit-def: $vgpr43
                                        ; implicit-def: $vgpr61
                                        ; implicit-def: $vgpr39
                                        ; implicit-def: $vgpr59
                                        ; implicit-def: $vgpr45
                                        ; implicit-def: $vgpr57
                                        ; implicit-def: $vgpr37
                                        ; implicit-def: $vgpr25
                                        ; implicit-def: $vgpr29
                                        ; implicit-def: $vgpr53
                                        ; implicit-def: $vgpr47
                                        ; implicit-def: $vgpr65
                                        ; implicit-def: $vgpr34
                                        ; implicit-def: $vgpr51
                                        ; implicit-def: $vgpr49
                                        ; implicit-def: $vgpr55
                                        ; implicit-def: $vgpr27
                                        ; implicit-def: $vgpr32
	s_load_b64 s[2:3], s[2:3], 0x0
	s_load_b64 s[0:1], s[0:1], 0x20
	s_wait_kmcnt 0x0
	v_mul_lo_u32 v3, s2, v8
	v_mul_lo_u32 v4, s3, v7
	v_mad_co_u64_u32 v[1:2], null, s2, v7, v[1:2]
	v_cmp_gt_u64_e32 vcc_lo, s[0:1], v[7:8]
                                        ; implicit-def: $vgpr7
	s_delay_alu instid0(VALU_DEP_2) | instskip(SKIP_1) | instid1(VALU_DEP_2)
	v_add3_u32 v2, v4, v2, v3
	v_mul_u32_u24_e32 v4, 0x51, v5
                                        ; implicit-def: $vgpr5
	v_lshlrev_b64_e32 v[2:3], 3, v[1:2]
	s_delay_alu instid0(VALU_DEP_2)
	v_sub_nc_u32_e32 v0, v0, v4
	s_and_saveexec_b32 s1, vcc_lo
; %bb.10:
	v_mov_b32_e32 v1, 0
	s_delay_alu instid0(VALU_DEP_1) | instskip(NEXT) | instid1(VALU_DEP_4)
	v_lshlrev_b64_e32 v[4:5], 3, v[0:1]
	v_add_co_u32 v1, s0, s8, v2
	s_wait_alu 0xf1ff
	v_add_co_ci_u32_e64 v6, s0, s9, v3, s0
	s_delay_alu instid0(VALU_DEP_2) | instskip(SKIP_1) | instid1(VALU_DEP_2)
	v_add_co_u32 v8, s0, v1, v4
	s_wait_alu 0xf1ff
	v_add_co_ci_u32_e64 v9, s0, v6, v5, s0
	s_clause 0x1d
	global_load_b64 v[31:32], v[8:9], off
	global_load_b64 v[24:25], v[8:9], off offset:648
	global_load_b64 v[36:37], v[8:9], off offset:2592
	;; [unrolled: 1-line block ×29, first 2 shown]
; %bb.11:
	s_wait_alu 0xfffe
	s_or_b32 exec_lo, exec_lo, s1
	s_wait_loadcnt 0x9
	v_dual_add_f32 v1, v64, v50 :: v_dual_add_f32 v30, v54, v31
	v_dual_sub_f32 v35, v55, v53 :: v_dual_sub_f32 v68, v52, v64
	v_dual_sub_f32 v66, v51, v65 :: v_dual_sub_f32 v67, v54, v50
	s_delay_alu instid0(VALU_DEP_3) | instskip(NEXT) | instid1(VALU_DEP_4)
	v_fma_f32 v1, -0.5, v1, v31
	v_add_f32_e32 v30, v50, v30
	v_add_f32_e32 v69, v52, v54
	s_delay_alu instid0(VALU_DEP_4) | instskip(NEXT) | instid1(VALU_DEP_3)
	v_dual_sub_f32 v70, v50, v54 :: v_dual_add_f32 v67, v68, v67
	v_dual_fmamk_f32 v71, v35, 0xbf737871, v1 :: v_dual_add_f32 v30, v64, v30
	v_dual_fmac_f32 v1, 0x3f737871, v35 :: v_dual_sub_f32 v68, v64, v52
	s_delay_alu instid0(VALU_DEP_2) | instskip(NEXT) | instid1(VALU_DEP_3)
	v_dual_sub_f32 v50, v50, v64 :: v_dual_fmac_f32 v71, 0xbf167918, v66
	v_add_f32_e32 v72, v52, v30
	v_dual_add_f32 v30, v55, v32 :: v_dual_fmac_f32 v31, -0.5, v69
	s_delay_alu instid0(VALU_DEP_4) | instskip(SKIP_1) | instid1(VALU_DEP_3)
	v_fmac_f32_e32 v1, 0x3f167918, v66
	v_dual_add_f32 v73, v65, v51 :: v_dual_add_f32 v68, v68, v70
	v_dual_add_f32 v30, v51, v30 :: v_dual_fmamk_f32 v69, v66, 0x3f737871, v31
	v_dual_fmac_f32 v31, 0xbf737871, v66 :: v_dual_sub_f32 v52, v54, v52
	v_add_f32_e32 v54, v53, v55
	v_fmac_f32_e32 v71, 0x3e9e377a, v67
	s_delay_alu instid0(VALU_DEP_4) | instskip(SKIP_1) | instid1(VALU_DEP_4)
	v_dual_fmac_f32 v69, 0xbf167918, v35 :: v_dual_add_f32 v30, v65, v30
	v_fma_f32 v66, -0.5, v73, v32
	v_dual_fmac_f32 v1, 0x3e9e377a, v67 :: v_dual_fmac_f32 v32, -0.5, v54
	s_delay_alu instid0(VALU_DEP_3) | instskip(SKIP_4) | instid1(VALU_DEP_4)
	v_dual_fmac_f32 v69, 0x3e9e377a, v68 :: v_dual_sub_f32 v64, v55, v51
	v_fmac_f32_e32 v31, 0x3f167918, v35
	v_sub_f32_e32 v67, v53, v65
	v_fmamk_f32 v35, v52, 0x3f737871, v66
	v_dual_fmac_f32 v66, 0xbf737871, v52 :: v_dual_sub_f32 v51, v51, v55
	v_dual_fmac_f32 v31, 0x3e9e377a, v68 :: v_dual_add_f32 v54, v48, v26
	v_add_f32_e32 v68, v53, v30
	v_add_f32_e32 v30, v67, v64
	v_dual_fmamk_f32 v64, v50, 0xbf737871, v32 :: v_dual_sub_f32 v53, v65, v53
	v_fmac_f32_e32 v66, 0xbf167918, v50
	v_fmac_f32_e32 v35, 0x3f167918, v50
	;; [unrolled: 1-line block ×3, first 2 shown]
	s_delay_alu instid0(VALU_DEP_4) | instskip(SKIP_4) | instid1(VALU_DEP_3)
	v_dual_fmac_f32 v64, 0x3f167918, v52 :: v_dual_add_f32 v51, v53, v51
	s_wait_loadcnt 0x5
	v_dual_add_f32 v50, v33, v54 :: v_dual_add_f32 v53, v46, v33
	v_fmac_f32_e32 v35, 0x3e9e377a, v30
	v_dual_fmac_f32 v66, 0x3e9e377a, v30 :: v_dual_sub_f32 v67, v33, v48
	v_add_f32_e32 v30, v46, v50
	v_fmac_f32_e32 v32, 0xbf167918, v52
	v_fmac_f32_e32 v64, 0x3e9e377a, v51
	v_fma_f32 v50, -0.5, v53, v26
	s_wait_loadcnt 0x3
	v_sub_f32_e32 v53, v49, v29
	v_sub_f32_e32 v54, v48, v33
	v_dual_fmac_f32 v32, 0x3e9e377a, v51 :: v_dual_sub_f32 v55, v28, v46
	v_dual_add_f32 v51, v28, v30 :: v_dual_sub_f32 v30, v34, v47
	v_add_f32_e32 v52, v28, v48
	v_dual_sub_f32 v70, v46, v28 :: v_dual_sub_f32 v33, v33, v46
	v_sub_f32_e32 v28, v48, v28
	v_add_f32_e32 v54, v55, v54
	s_delay_alu instid0(VALU_DEP_3) | instskip(SKIP_2) | instid1(VALU_DEP_3)
	v_dual_fmac_f32 v26, -0.5, v52 :: v_dual_add_f32 v55, v70, v67
	v_fmamk_f32 v52, v53, 0xbf737871, v50
	v_fmac_f32_e32 v50, 0x3f737871, v53
	v_dual_add_f32 v48, v49, v27 :: v_dual_fmamk_f32 v65, v30, 0x3f737871, v26
	v_sub_f32_e32 v67, v47, v29
	s_delay_alu instid0(VALU_DEP_2) | instskip(NEXT) | instid1(VALU_DEP_4)
	v_dual_fmac_f32 v65, 0xbf167918, v53 :: v_dual_fmac_f32 v52, 0xbf167918, v30
	v_fmac_f32_e32 v50, 0x3f167918, v30
	v_fmac_f32_e32 v26, 0xbf737871, v30
	s_delay_alu instid0(VALU_DEP_3) | instskip(NEXT) | instid1(VALU_DEP_2)
	v_dual_add_f32 v30, v47, v34 :: v_dual_fmac_f32 v65, 0x3e9e377a, v55
	v_fmac_f32_e32 v26, 0x3f167918, v53
	v_add_f32_e32 v53, v29, v49
	s_delay_alu instid0(VALU_DEP_3) | instskip(NEXT) | instid1(VALU_DEP_2)
	v_fma_f32 v30, -0.5, v30, v27
	v_fmac_f32_e32 v27, -0.5, v53
	s_delay_alu instid0(VALU_DEP_2) | instskip(NEXT) | instid1(VALU_DEP_1)
	v_fmamk_f32 v53, v28, 0x3f737871, v30
	v_fmac_f32_e32 v53, 0x3f167918, v33
	v_fmac_f32_e32 v26, 0x3e9e377a, v55
	s_delay_alu instid0(VALU_DEP_4) | instskip(SKIP_2) | instid1(VALU_DEP_3)
	v_fmamk_f32 v55, v33, 0xbf737871, v27
	v_fmac_f32_e32 v27, 0x3f737871, v33
	v_fmac_f32_e32 v30, 0xbf737871, v28
	v_fmac_f32_e32 v55, 0x3f167918, v28
	s_delay_alu instid0(VALU_DEP_3) | instskip(SKIP_1) | instid1(VALU_DEP_1)
	v_dual_fmac_f32 v27, 0xbf167918, v28 :: v_dual_sub_f32 v46, v49, v34
	v_dual_sub_f32 v49, v34, v49 :: v_dual_fmac_f32 v52, 0x3e9e377a, v54
	v_dual_add_f32 v49, v67, v49 :: v_dual_fmac_f32 v50, 0x3e9e377a, v54
	v_sub_f32_e32 v54, v29, v47
	s_delay_alu instid0(VALU_DEP_3) | instskip(NEXT) | instid1(VALU_DEP_3)
	v_mul_f32_e32 v74, 0x3f167918, v52
	v_fmac_f32_e32 v27, 0x3e9e377a, v49
	s_delay_alu instid0(VALU_DEP_3) | instskip(NEXT) | instid1(VALU_DEP_2)
	v_dual_fmac_f32 v55, 0x3e9e377a, v49 :: v_dual_add_f32 v46, v54, v46
	v_mul_f32_e32 v67, 0xbf737871, v27
	v_mul_f32_e32 v75, 0xbe9e377a, v27
	s_delay_alu instid0(VALU_DEP_3) | instskip(NEXT) | instid1(VALU_DEP_3)
	v_dual_fmac_f32 v53, 0x3e9e377a, v46 :: v_dual_add_f32 v28, v34, v48
	v_fmac_f32_e32 v67, 0xbe9e377a, v26
	v_fmac_f32_e32 v30, 0xbf167918, v33
	s_delay_alu instid0(VALU_DEP_3) | instskip(SKIP_4) | instid1(VALU_DEP_4)
	v_fmac_f32_e32 v74, 0x3f4f1bbd, v53
	v_mul_f32_e32 v34, 0xbf737871, v55
	v_fmac_f32_e32 v75, 0x3f737871, v26
	v_add_f32_e32 v49, v31, v67
	v_mul_f32_e32 v33, 0xbf167918, v53
	v_dual_add_f32 v27, v35, v74 :: v_dual_fmac_f32 v34, 0x3e9e377a, v65
	v_mul_f32_e32 v65, 0x3f737871, v65
	v_fmac_f32_e32 v30, 0x3e9e377a, v46
	v_dual_add_f32 v46, v51, v72 :: v_dual_sub_f32 v53, v72, v51
	s_delay_alu instid0(VALU_DEP_3) | instskip(NEXT) | instid1(VALU_DEP_1)
	v_dual_fmac_f32 v65, 0x3e9e377a, v55 :: v_dual_add_f32 v28, v47, v28
	v_dual_mul_f32 v73, 0xbf167918, v30 :: v_dual_add_f32 v70, v29, v28
	s_delay_alu instid0(VALU_DEP_1) | instskip(SKIP_1) | instid1(VALU_DEP_4)
	v_fmac_f32_e32 v73, 0xbf4f1bbd, v50
	v_mul_f32_e32 v76, 0xbf4f1bbd, v30
	v_add_f32_e32 v28, v64, v65
	v_add_f32_e32 v29, v32, v75
	v_dual_fmac_f32 v33, 0x3f4f1bbd, v52 :: v_dual_add_f32 v48, v69, v34
	v_add_f32_e32 v52, v1, v73
	v_dual_sub_f32 v51, v1, v73 :: v_dual_fmac_f32 v76, 0x3f167918, v50
	v_add_f32_e32 v1, v56, v24
	s_delay_alu instid0(VALU_DEP_4) | instskip(SKIP_2) | instid1(VALU_DEP_4)
	v_add_f32_e32 v47, v71, v33
	v_dual_sub_f32 v54, v71, v33 :: v_dual_add_f32 v33, v60, v58
	v_sub_f32_e32 v55, v69, v34
	v_dual_sub_f32 v34, v35, v74 :: v_dual_add_f32 v1, v58, v1
	v_add_f32_e32 v26, v70, v68
	v_dual_add_f32 v30, v66, v76 :: v_dual_sub_f32 v69, v57, v63
	v_dual_sub_f32 v50, v31, v67 :: v_dual_sub_f32 v35, v64, v65
	v_fma_f32 v67, -0.5, v33, v24
	v_dual_sub_f32 v31, v68, v70 :: v_dual_add_f32 v70, v62, v56
	v_add_f32_e32 v1, v60, v1
	s_delay_alu instid0(VALU_DEP_3) | instskip(SKIP_1) | instid1(VALU_DEP_3)
	v_dual_sub_f32 v65, v59, v61 :: v_dual_fmamk_f32 v64, v69, 0xbf737871, v67
	v_dual_sub_f32 v33, v56, v58 :: v_dual_sub_f32 v68, v62, v60
	v_dual_fmac_f32 v24, -0.5, v70 :: v_dual_add_f32 v1, v62, v1
	v_dual_fmac_f32 v67, 0x3f737871, v69 :: v_dual_sub_f32 v32, v32, v75
	s_delay_alu instid0(VALU_DEP_4) | instskip(NEXT) | instid1(VALU_DEP_4)
	v_dual_fmac_f32 v64, 0xbf167918, v65 :: v_dual_sub_f32 v71, v60, v62
	v_dual_add_f32 v68, v68, v33 :: v_dual_add_f32 v73, v61, v59
	s_delay_alu instid0(VALU_DEP_4) | instskip(NEXT) | instid1(VALU_DEP_4)
	v_dual_sub_f32 v33, v66, v76 :: v_dual_fmamk_f32 v66, v65, 0x3f737871, v24
	v_dual_sub_f32 v70, v58, v56 :: v_dual_fmac_f32 v67, 0x3f167918, v65
	v_add_f32_e32 v72, v57, v25
	s_delay_alu instid0(VALU_DEP_4)
	v_fmac_f32_e32 v64, 0x3e9e377a, v68
	v_sub_f32_e32 v56, v56, v62
	v_sub_f32_e32 v58, v58, v60
	v_fmac_f32_e32 v67, 0x3e9e377a, v68
	v_fmac_f32_e32 v66, 0xbf167918, v69
	v_add_f32_e32 v68, v63, v57
	v_dual_fmac_f32 v24, 0xbf737871, v65 :: v_dual_add_f32 v65, v59, v72
	v_dual_sub_f32 v60, v57, v59 :: v_dual_sub_f32 v57, v59, v57
	v_add_f32_e32 v70, v71, v70
	v_fma_f32 v71, -0.5, v73, v25
	s_delay_alu instid0(VALU_DEP_4) | instskip(SKIP_1) | instid1(VALU_DEP_3)
	v_dual_add_f32 v62, v61, v65 :: v_dual_fmac_f32 v25, -0.5, v68
	v_sub_f32_e32 v59, v61, v63
	v_fmamk_f32 v65, v56, 0x3f737871, v71
	v_fmac_f32_e32 v71, 0xbf737871, v56
	s_delay_alu instid0(VALU_DEP_3) | instskip(NEXT) | instid1(VALU_DEP_3)
	v_dual_fmac_f32 v66, 0x3e9e377a, v70 :: v_dual_add_f32 v57, v59, v57
	v_dual_fmac_f32 v24, 0x3f167918, v69 :: v_dual_fmac_f32 v65, 0x3f167918, v58
	v_dual_sub_f32 v69, v63, v61 :: v_dual_fmamk_f32 v68, v58, 0xbf737871, v25
	v_add_f32_e32 v61, v44, v36
	v_fmac_f32_e32 v71, 0xbf167918, v58
	s_delay_alu instid0(VALU_DEP_3) | instskip(NEXT) | instid1(VALU_DEP_4)
	v_dual_fmac_f32 v25, 0x3f737871, v58 :: v_dual_add_f32 v60, v69, v60
	v_dual_fmac_f32 v68, 0x3f167918, v56 :: v_dual_add_f32 v59, v42, v38
	s_delay_alu instid0(VALU_DEP_4) | instskip(NEXT) | instid1(VALU_DEP_3)
	v_add_f32_e32 v58, v38, v61
	v_dual_fmac_f32 v24, 0x3e9e377a, v70 :: v_dual_fmac_f32 v71, 0x3e9e377a, v60
	s_delay_alu instid0(VALU_DEP_4) | instskip(NEXT) | instid1(VALU_DEP_3)
	v_dual_add_f32 v62, v63, v62 :: v_dual_fmac_f32 v25, 0xbf167918, v56
	v_dual_fmac_f32 v65, 0x3e9e377a, v60 :: v_dual_add_f32 v56, v42, v58
	v_fma_f32 v58, -0.5, v59, v36
	s_wait_loadcnt 0x1
	v_add_f32_e32 v59, v40, v44
	v_fmac_f32_e32 v25, 0x3e9e377a, v57
	v_sub_f32_e32 v60, v45, v41
	v_dual_fmac_f32 v68, 0x3e9e377a, v57 :: v_dual_add_f32 v61, v40, v56
	s_delay_alu instid0(VALU_DEP_4) | instskip(SKIP_1) | instid1(VALU_DEP_4)
	v_dual_fmac_f32 v36, -0.5, v59 :: v_dual_sub_f32 v63, v40, v42
	v_dual_sub_f32 v59, v44, v38 :: v_dual_sub_f32 v56, v39, v43
	v_fmamk_f32 v57, v60, 0xbf737871, v58
	v_fmac_f32_e32 v58, 0x3f737871, v60
	s_delay_alu instid0(VALU_DEP_3) | instskip(NEXT) | instid1(VALU_DEP_4)
	v_dual_sub_f32 v70, v38, v44 :: v_dual_add_f32 v59, v63, v59
	v_fmamk_f32 v69, v56, 0x3f737871, v36
	s_delay_alu instid0(VALU_DEP_4) | instskip(NEXT) | instid1(VALU_DEP_4)
	v_fmac_f32_e32 v57, 0xbf167918, v56
	v_fmac_f32_e32 v58, 0x3f167918, v56
	v_fmac_f32_e32 v36, 0xbf737871, v56
	v_add_f32_e32 v56, v43, v39
	s_delay_alu instid0(VALU_DEP_4) | instskip(SKIP_2) | instid1(VALU_DEP_4)
	v_dual_sub_f32 v72, v42, v40 :: v_dual_fmac_f32 v57, 0x3e9e377a, v59
	v_fmac_f32_e32 v69, 0xbf167918, v60
	v_sub_f32_e32 v40, v44, v40
	v_fma_f32 v56, -0.5, v56, v37
	s_delay_alu instid0(VALU_DEP_4) | instskip(SKIP_1) | instid1(VALU_DEP_2)
	v_dual_add_f32 v63, v72, v70 :: v_dual_fmac_f32 v58, 0x3e9e377a, v59
	v_dual_add_f32 v59, v41, v45 :: v_dual_fmac_f32 v36, 0x3f167918, v60
	;; [unrolled: 1-line block ×3, first 2 shown]
	s_delay_alu instid0(VALU_DEP_2)
	v_dual_sub_f32 v38, v38, v42 :: v_dual_fmac_f32 v37, -0.5, v59
	v_sub_f32_e32 v42, v45, v39
	v_dual_sub_f32 v60, v41, v43 :: v_dual_sub_f32 v45, v39, v45
	v_sub_f32_e32 v70, v43, v41
	v_fmac_f32_e32 v36, 0x3e9e377a, v63
	v_fmamk_f32 v63, v38, 0xbf737871, v37
	v_fmamk_f32 v59, v40, 0x3f737871, v56
	v_fmac_f32_e32 v37, 0x3f737871, v38
	v_add_f32_e32 v42, v60, v42
	v_fmac_f32_e32 v56, 0xbf737871, v40
	v_fmac_f32_e32 v63, 0x3f167918, v40
	;; [unrolled: 1-line block ×3, first 2 shown]
	v_add_f32_e32 v45, v70, v45
	s_delay_alu instid0(VALU_DEP_4) | instskip(SKIP_1) | instid1(VALU_DEP_4)
	v_dual_fmac_f32 v37, 0xbf167918, v40 :: v_dual_fmac_f32 v56, 0xbf167918, v38
	v_mul_f32_e32 v75, 0x3f167918, v57
	v_fmac_f32_e32 v59, 0x3e9e377a, v42
	v_add_f32_e32 v39, v39, v44
	s_delay_alu instid0(VALU_DEP_4) | instskip(NEXT) | instid1(VALU_DEP_3)
	v_dual_fmac_f32 v63, 0x3e9e377a, v45 :: v_dual_fmac_f32 v56, 0x3e9e377a, v42
	v_mul_f32_e32 v60, 0xbf167918, v59
	s_delay_alu instid0(VALU_DEP_3) | instskip(NEXT) | instid1(VALU_DEP_3)
	v_dual_add_f32 v38, v43, v39 :: v_dual_sub_f32 v43, v1, v61
	v_mul_f32_e32 v77, 0xbf4f1bbd, v56
	v_mul_f32_e32 v74, 0xbf167918, v56
	s_delay_alu instid0(VALU_DEP_4) | instskip(NEXT) | instid1(VALU_DEP_4)
	v_fmac_f32_e32 v60, 0x3f4f1bbd, v57
	v_dual_mul_f32 v70, 0xbf737871, v63 :: v_dual_add_f32 v73, v41, v38
	v_dual_add_f32 v38, v61, v1 :: v_dual_fmac_f32 v75, 0x3f4f1bbd, v59
	s_delay_alu instid0(VALU_DEP_2) | instskip(NEXT) | instid1(VALU_DEP_3)
	v_dual_add_f32 v39, v64, v60 :: v_dual_fmac_f32 v70, 0x3e9e377a, v69
	v_dual_mul_f32 v69, 0x3f737871, v69 :: v_dual_add_f32 v44, v73, v62
	v_add_f32_e32 v1, v20, v18
	v_sub_f32_e32 v59, v62, v73
	v_add_f32_e32 v73, v21, v19
	s_delay_alu instid0(VALU_DEP_4) | instskip(SKIP_2) | instid1(VALU_DEP_3)
	v_fmac_f32_e32 v69, 0x3e9e377a, v63
	v_dual_fmac_f32 v37, 0x3e9e377a, v45 :: v_dual_add_f32 v40, v66, v70
	v_fmac_f32_e32 v77, 0x3f167918, v58
	v_dual_add_f32 v45, v65, v75 :: v_dual_add_f32 v56, v68, v69
	s_delay_alu instid0(VALU_DEP_3) | instskip(SKIP_2) | instid1(VALU_DEP_3)
	v_mul_f32_e32 v72, 0xbf737871, v37
	v_dual_mul_f32 v76, 0xbe9e377a, v37 :: v_dual_sub_f32 v37, v66, v70
	v_fma_f32 v1, -0.5, v1, v4
	v_dual_sub_f32 v63, v17, v23 :: v_dual_fmac_f32 v72, 0xbe9e377a, v36
	s_delay_alu instid0(VALU_DEP_3) | instskip(SKIP_2) | instid1(VALU_DEP_4)
	v_fmac_f32_e32 v76, 0x3f737871, v36
	v_fmac_f32_e32 v74, 0xbf4f1bbd, v58
	v_add_f32_e32 v58, v71, v77
	v_dual_sub_f32 v66, v65, v75 :: v_dual_add_f32 v41, v24, v72
	s_delay_alu instid0(VALU_DEP_3)
	v_dual_add_f32 v57, v25, v76 :: v_dual_add_f32 v42, v67, v74
	v_dual_sub_f32 v36, v64, v60 :: v_dual_sub_f32 v61, v67, v74
	v_sub_f32_e32 v60, v24, v72
	v_dual_sub_f32 v67, v68, v69 :: v_dual_fmamk_f32 v62, v63, 0xbf737871, v1
	v_dual_sub_f32 v65, v16, v18 :: v_dual_sub_f32 v64, v19, v21
	v_sub_f32_e32 v69, v22, v20
	v_add_f32_e32 v24, v16, v4
	v_dual_add_f32 v70, v22, v16 :: v_dual_fmac_f32 v1, 0x3f737871, v63
	s_delay_alu instid0(VALU_DEP_4) | instskip(SKIP_1) | instid1(VALU_DEP_3)
	v_fmac_f32_e32 v62, 0xbf167918, v64
	v_fma_f32 v74, -0.5, v73, v5
	v_dual_fmac_f32 v4, -0.5, v70 :: v_dual_fmac_f32 v1, 0x3f167918, v64
	v_sub_f32_e32 v68, v25, v76
	v_dual_add_f32 v25, v69, v65 :: v_dual_add_f32 v24, v18, v24
	v_sub_f32_e32 v69, v71, v77
	s_delay_alu instid0(VALU_DEP_4) | instskip(SKIP_1) | instid1(VALU_DEP_4)
	v_fmamk_f32 v65, v64, 0x3f737871, v4
	v_fmac_f32_e32 v4, 0xbf737871, v64
	v_dual_sub_f32 v70, v18, v16 :: v_dual_fmac_f32 v1, 0x3e9e377a, v25
	v_add_f32_e32 v24, v20, v24
	v_sub_f32_e32 v71, v20, v22
	v_fmac_f32_e32 v65, 0xbf167918, v63
	v_dual_fmac_f32 v4, 0x3f167918, v63 :: v_dual_add_f32 v63, v23, v17
	s_delay_alu instid0(VALU_DEP_4) | instskip(NEXT) | instid1(VALU_DEP_4)
	v_add_f32_e32 v24, v22, v24
	v_add_f32_e32 v70, v71, v70
	v_sub_f32_e32 v18, v18, v20
	v_sub_f32_e32 v16, v16, v22
	v_dual_add_f32 v72, v17, v5 :: v_dual_fmac_f32 v5, -0.5, v63
	s_delay_alu instid0(VALU_DEP_4) | instskip(SKIP_2) | instid1(VALU_DEP_3)
	v_dual_fmac_f32 v62, 0x3e9e377a, v25 :: v_dual_fmac_f32 v65, 0x3e9e377a, v70
	s_wait_loadcnt 0x0
	v_sub_f32_e32 v71, v10, v8
	v_fmamk_f32 v63, v18, 0xbf737871, v5
	v_dual_fmamk_f32 v25, v16, 0x3f737871, v74 :: v_dual_add_f32 v64, v19, v72
	v_dual_sub_f32 v20, v17, v19 :: v_dual_sub_f32 v17, v19, v17
	s_delay_alu instid0(VALU_DEP_3) | instskip(SKIP_1) | instid1(VALU_DEP_4)
	v_fmac_f32_e32 v63, 0x3f167918, v16
	v_sub_f32_e32 v19, v21, v23
	v_dual_fmac_f32 v25, 0x3f167918, v18 :: v_dual_add_f32 v22, v21, v64
	v_sub_f32_e32 v64, v23, v21
	v_dual_fmac_f32 v74, 0xbf737871, v16 :: v_dual_add_f32 v21, v14, v6
	v_fmac_f32_e32 v5, 0x3f737871, v18
	v_dual_fmac_f32 v4, 0x3e9e377a, v70 :: v_dual_add_f32 v17, v19, v17
	s_delay_alu instid0(VALU_DEP_4) | instskip(SKIP_1) | instid1(VALU_DEP_4)
	v_add_f32_e32 v20, v64, v20
	v_dual_add_f32 v22, v23, v22 :: v_dual_add_f32 v19, v10, v12
	v_dual_fmac_f32 v74, 0xbf167918, v18 :: v_dual_fmac_f32 v5, 0xbf167918, v16
	s_delay_alu instid0(VALU_DEP_3) | instskip(NEXT) | instid1(VALU_DEP_2)
	v_dual_add_f32 v18, v12, v21 :: v_dual_fmac_f32 v25, 0x3e9e377a, v20
	v_dual_fmac_f32 v63, 0x3e9e377a, v17 :: v_dual_fmac_f32 v74, 0x3e9e377a, v20
	v_dual_sub_f32 v20, v15, v9 :: v_dual_sub_f32 v21, v14, v12
	s_delay_alu instid0(VALU_DEP_4) | instskip(NEXT) | instid1(VALU_DEP_4)
	v_fmac_f32_e32 v5, 0x3e9e377a, v17
	v_dual_sub_f32 v17, v13, v11 :: v_dual_add_f32 v16, v10, v18
	v_fma_f32 v18, -0.5, v19, v6
	v_add_f32_e32 v19, v8, v14
	s_delay_alu instid0(VALU_DEP_1) | instskip(NEXT) | instid1(VALU_DEP_3)
	v_dual_sub_f32 v23, v8, v10 :: v_dual_fmac_f32 v6, -0.5, v19
	v_fmamk_f32 v19, v20, 0xbf737871, v18
	s_delay_alu instid0(VALU_DEP_2) | instskip(SKIP_1) | instid1(VALU_DEP_4)
	v_dual_fmac_f32 v18, 0x3f737871, v20 :: v_dual_add_f32 v21, v23, v21
	v_sub_f32_e32 v70, v12, v14
	v_fmamk_f32 v64, v17, 0x3f737871, v6
	s_delay_alu instid0(VALU_DEP_4) | instskip(NEXT) | instid1(VALU_DEP_4)
	v_fmac_f32_e32 v19, 0xbf167918, v17
	v_fmac_f32_e32 v18, 0x3f167918, v17
	;; [unrolled: 1-line block ×3, first 2 shown]
	s_delay_alu instid0(VALU_DEP_4) | instskip(SKIP_1) | instid1(VALU_DEP_3)
	v_dual_add_f32 v17, v11, v13 :: v_dual_fmac_f32 v64, 0xbf167918, v20
	v_dual_add_f32 v23, v71, v70 :: v_dual_add_f32 v16, v8, v16
	v_fmac_f32_e32 v6, 0x3f167918, v20
	s_delay_alu instid0(VALU_DEP_3)
	v_fma_f32 v17, -0.5, v17, v7
	v_sub_f32_e32 v70, v11, v9
	v_sub_f32_e32 v10, v12, v10
	v_dual_add_f32 v20, v9, v15 :: v_dual_fmac_f32 v19, 0x3e9e377a, v21
	v_fmac_f32_e32 v64, 0x3e9e377a, v23
	v_dual_fmac_f32 v18, 0x3e9e377a, v21 :: v_dual_sub_f32 v21, v9, v11
	v_sub_f32_e32 v8, v14, v8
	s_delay_alu instid0(VALU_DEP_4) | instskip(SKIP_1) | instid1(VALU_DEP_1)
	v_dual_add_f32 v14, v15, v7 :: v_dual_fmac_f32 v7, -0.5, v20
	v_dual_sub_f32 v12, v15, v13 :: v_dual_sub_f32 v15, v13, v15
	v_dual_add_f32 v15, v70, v15 :: v_dual_add_f32 v12, v21, v12
	v_fmac_f32_e32 v6, 0x3e9e377a, v23
	s_delay_alu instid0(VALU_DEP_4) | instskip(SKIP_3) | instid1(VALU_DEP_4)
	v_fmamk_f32 v23, v10, 0xbf737871, v7
	v_fmac_f32_e32 v7, 0x3f737871, v10
	v_fmamk_f32 v20, v8, 0x3f737871, v17
	v_fmac_f32_e32 v17, 0xbf737871, v8
	v_fmac_f32_e32 v23, 0x3f167918, v8
	s_delay_alu instid0(VALU_DEP_4) | instskip(SKIP_1) | instid1(VALU_DEP_3)
	v_dual_fmac_f32 v7, 0xbf167918, v8 :: v_dual_add_f32 v8, v13, v14
	v_sub_f32_e32 v13, v24, v16
	v_fmac_f32_e32 v23, 0x3e9e377a, v15
	s_delay_alu instid0(VALU_DEP_3) | instskip(NEXT) | instid1(VALU_DEP_4)
	v_fmac_f32_e32 v7, 0x3e9e377a, v15
	v_dual_fmac_f32 v17, 0xbf167918, v10 :: v_dual_add_f32 v8, v11, v8
	s_delay_alu instid0(VALU_DEP_3) | instskip(NEXT) | instid1(VALU_DEP_3)
	v_mul_f32_e32 v15, 0xbf737871, v23
	v_mul_f32_e32 v81, 0xbe9e377a, v7
	s_delay_alu instid0(VALU_DEP_3) | instskip(NEXT) | instid1(VALU_DEP_4)
	v_fmac_f32_e32 v17, 0x3e9e377a, v12
	v_add_f32_e32 v75, v9, v8
	v_add_f32_e32 v8, v16, v24
	v_fmac_f32_e32 v15, 0x3e9e377a, v64
	v_dual_mul_f32 v64, 0x3f737871, v64 :: v_dual_fmac_f32 v81, 0x3f737871, v6
	v_mul_f32_e32 v76, 0xbf167918, v17
	v_mul_f32_e32 v17, 0xbf4f1bbd, v17
	v_mul_u32_u24_e32 v16, 10, v0
	s_delay_alu instid0(VALU_DEP_4)
	v_fmac_f32_e32 v64, 0x3e9e377a, v23
	v_add_f32_e32 v70, v75, v22
	v_fmac_f32_e32 v76, 0xbf4f1bbd, v18
	v_mul_f32_e32 v21, 0xbf737871, v7
	v_lshl_add_u32 v83, v16, 2, 0
	v_add_f32_e32 v72, v63, v64
	v_sub_f32_e32 v80, v63, v64
	ds_store_2addr_b64 v83, v[46:47], v[48:49] offset1:1
	ds_store_2addr_b64 v83, v[52:53], v[54:55] offset0:2 offset1:3
	v_fmac_f32_e32 v21, 0xbe9e377a, v6
	v_fmac_f32_e32 v20, 0x3f167918, v10
	v_dual_add_f32 v10, v65, v15 :: v_dual_fmac_f32 v17, 0x3f167918, v18
	v_add_nc_u32_e32 v63, 0xca8, v83
	s_delay_alu instid0(VALU_DEP_3) | instskip(SKIP_3) | instid1(VALU_DEP_4)
	v_dual_add_f32 v11, v4, v21 :: v_dual_fmac_f32 v20, 0x3e9e377a, v12
	v_dual_add_f32 v12, v1, v76 :: v_dual_add_nc_u32 v85, 0x1950, v83
	v_add_nc_u32_e32 v84, 0xcb8, v83
	v_add_nc_u32_e32 v86, 0x1960, v83
	v_mul_f32_e32 v14, 0xbf167918, v20
	v_sub_f32_e32 v78, v22, v75
	ds_store_2addr_b64 v63, v[38:39], v[40:41] offset1:1
	ds_store_2addr_b64 v84, v[42:43], v[36:37] offset1:1
	v_add_nc_u32_e32 v64, 0xa2, v0
	v_fmac_f32_e32 v14, 0x3f4f1bbd, v19
	v_mul_f32_e32 v19, 0x3f167918, v19
	s_delay_alu instid0(VALU_DEP_2) | instskip(NEXT) | instid1(VALU_DEP_2)
	v_add_f32_e32 v9, v62, v14
	v_fmac_f32_e32 v19, 0x3f4f1bbd, v20
	v_dual_add_f32 v73, v5, v81 :: v_dual_sub_f32 v6, v62, v14
	v_dual_sub_f32 v14, v4, v21 :: v_dual_sub_f32 v7, v65, v15
	v_dual_sub_f32 v82, v74, v17 :: v_dual_sub_f32 v15, v1, v76
	v_mad_i32_i24 v1, 0xffffffdc, v0, v83
	v_add_f32_e32 v77, v74, v17
	v_sub_f32_e32 v81, v5, v81
	v_add_f32_e32 v71, v25, v19
	s_delay_alu instid0(VALU_DEP_4)
	v_dual_sub_f32 v79, v25, v19 :: v_dual_add_nc_u32 v46, 0xc00, v1
	v_add_nc_u32_e32 v47, 0x1800, v1
	v_add_nc_u32_e32 v48, 0xe00, v1
	;; [unrolled: 1-line block ×3, first 2 shown]
	ds_store_2addr_b64 v85, v[8:9], v[10:11] offset1:1
	ds_store_2addr_b64 v86, v[12:13], v[6:7] offset1:1
	ds_store_b64 v83, v[50:51] offset:32
	ds_store_b64 v83, v[60:61] offset:3272
	;; [unrolled: 1-line block ×3, first 2 shown]
	global_wb scope:SCOPE_SE
	s_wait_dscnt 0x0
	s_barrier_signal -1
	s_barrier_wait -1
	global_inv scope:SCOPE_SE
	ds_load_2addr_b32 v[12:13], v1 offset1:81
	ds_load_2addr_b32 v[40:41], v46 offset0:42 offset1:123
	ds_load_2addr_b32 v[38:39], v47 offset0:84 offset1:165
	ds_load_2addr_b32 v[10:11], v1 offset0:162 offset1:243
	ds_load_2addr_b32 v[36:37], v48 offset0:76 offset1:157
	ds_load_2addr_b32 v[24:25], v49 offset0:118 offset1:199
	v_and_b32_e32 v75, 0xff, v0
	v_add_nc_u32_e32 v65, 0x51, v0
	v_add_nc_u32_e32 v50, 0x400, v1
	;; [unrolled: 1-line block ×4, first 2 shown]
	v_mul_lo_u16 v74, 0xcd, v75
	v_add_nc_u32_e32 v53, 0x600, v1
	v_add_nc_u32_e32 v54, 0x1400, v1
	ds_load_2addr_b32 v[6:7], v50 offset0:68 offset1:149
	ds_load_2addr_b32 v[22:23], v51 offset0:110 offset1:191
	;; [unrolled: 1-line block ×5, first 2 shown]
	v_add_nc_u32_e32 v55, 0x2000, v1
	v_add_nc_u32_e32 v60, 0x800, v1
	v_lshrrev_b16 v76, 11, v74
	v_and_b32_e32 v74, 0xff, v65
	v_add_nc_u32_e32 v61, 0x1600, v1
	v_add_nc_u32_e32 v62, 0x2200, v1
	ds_load_2addr_b32 v[42:43], v55 offset0:58 offset1:139
	ds_load_2addr_b32 v[8:9], v60 offset0:136 offset1:217
	;; [unrolled: 1-line block ×4, first 2 shown]
	global_wb scope:SCOPE_SE
	s_wait_dscnt 0x0
	s_barrier_signal -1
	s_barrier_wait -1
	global_inv scope:SCOPE_SE
	v_mul_lo_u16 v87, v76, 10
	ds_store_2addr_b64 v83, v[26:27], v[28:29] offset1:1
	ds_store_2addr_b64 v83, v[30:31], v[34:35] offset0:2 offset1:3
	v_mul_lo_u16 v26, 0xcd, v74
	ds_store_2addr_b64 v63, v[44:45], v[56:57] offset1:1
	ds_store_2addr_b64 v84, v[58:59], v[66:67] offset1:1
	ds_store_2addr_b64 v85, v[70:71], v[72:73] offset1:1
	ds_store_2addr_b64 v86, v[77:78], v[79:80] offset1:1
	v_sub_nc_u16 v27, v0, v87
	ds_store_b64 v83, v[32:33] offset:32
	ds_store_b64 v83, v[68:69] offset:3272
	;; [unrolled: 1-line block ×3, first 2 shown]
	v_lshrrev_b16 v26, 11, v26
	global_wb scope:SCOPE_SE
	s_wait_dscnt 0x0
	s_barrier_signal -1
	v_and_b32_e32 v29, 0xff, v27
	s_barrier_wait -1
	v_mul_lo_u16 v27, v26, 10
	global_inv scope:SCOPE_SE
	v_add_nc_u32_e32 v45, 0xf3, v0
	v_lshlrev_b32_e32 v31, 4, v29
	v_add_nc_u32_e32 v57, 0x144, v0
	v_sub_nc_u16 v27, v65, v27
	v_add_nc_u32_e32 v44, 0x195, v0
	v_and_b32_e32 v73, 0xffff, v45
	global_load_b128 v[78:81], v31, s[4:5]
	v_and_b32_e32 v72, 0xffff, v57
	v_and_b32_e32 v30, 0xff, v27
	;; [unrolled: 1-line block ×3, first 2 shown]
	v_mul_u32_u24_e32 v27, 0xcccd, v73
	v_add_nc_u32_e32 v63, 0x237, v0
	v_mul_u32_u24_e32 v34, 0xcccd, v72
	v_lshlrev_b32_e32 v33, 4, v30
	v_mul_u32_u24_e32 v58, 0xcccd, v71
	v_lshrrev_b32_e32 v27, 19, v27
	global_load_b128 v[82:85], v33, s[4:5]
	v_and_b32_e32 v70, 0xff, v64
	v_mul_lo_u16 v33, v27, 10
	s_delay_alu instid0(VALU_DEP_2) | instskip(NEXT) | instid1(VALU_DEP_2)
	v_mul_lo_u16 v28, 0xcd, v70
	v_sub_nc_u16 v33, v45, v33
	s_delay_alu instid0(VALU_DEP_2) | instskip(NEXT) | instid1(VALU_DEP_2)
	v_lshrrev_b16 v28, 11, v28
	v_and_b32_e32 v35, 0xffff, v33
	v_lshrrev_b32_e32 v33, 19, v58
	s_delay_alu instid0(VALU_DEP_3) | instskip(NEXT) | instid1(VALU_DEP_1)
	v_mul_lo_u16 v32, v28, 10
	v_sub_nc_u16 v31, v64, v32
	s_delay_alu instid0(VALU_DEP_1) | instskip(SKIP_1) | instid1(VALU_DEP_2)
	v_and_b32_e32 v32, 0xff, v31
	v_lshrrev_b32_e32 v31, 19, v34
	v_lshlrev_b32_e32 v34, 4, v32
	s_delay_alu instid0(VALU_DEP_2) | instskip(SKIP_3) | instid1(VALU_DEP_2)
	v_mul_lo_u16 v59, v31, 10
	global_load_b128 v[86:89], v34, s[4:5]
	v_sub_nc_u16 v58, v57, v59
	v_mul_lo_u16 v59, v33, 10
	v_and_b32_e32 v77, 0xffff, v58
	s_delay_alu instid0(VALU_DEP_2) | instskip(NEXT) | instid1(VALU_DEP_2)
	v_sub_nc_u16 v59, v44, v59
	v_lshlrev_b32_e32 v69, 4, v77
	s_delay_alu instid0(VALU_DEP_2)
	v_and_b32_e32 v132, 0xffff, v59
	v_add_nc_u32_e32 v59, 0x2d9, v0
	global_load_b128 v[106:109], v69, s[4:5]
	v_add_nc_u32_e32 v56, 0x1e6, v0
	v_and_b32_e32 v66, 0xffff, v63
	v_lshlrev_b32_e32 v34, 4, v35
	v_and_b32_e32 v69, 0xffff, v59
	s_delay_alu instid0(VALU_DEP_4) | instskip(NEXT) | instid1(VALU_DEP_4)
	v_and_b32_e32 v67, 0xffff, v56
	v_mul_u32_u24_e32 v90, 0xcccd, v66
	global_load_b128 v[102:105], v34, s[4:5]
	v_mul_u32_u24_e32 v68, 0xcccd, v67
	v_lshrrev_b32_e32 v97, 19, v90
	v_lshlrev_b32_e32 v90, 4, v132
	s_delay_alu instid0(VALU_DEP_2) | instskip(SKIP_4) | instid1(VALU_DEP_3)
	v_mul_lo_u16 v93, v97, 10
	global_load_b128 v[110:113], v90, s[4:5]
	v_lshrrev_b32_e32 v34, 19, v68
	v_add_nc_u32_e32 v58, 0x288, v0
	v_sub_nc_u16 v90, v63, v93
	v_mul_lo_u16 v91, v34, 10
	s_delay_alu instid0(VALU_DEP_3) | instskip(NEXT) | instid1(VALU_DEP_3)
	v_and_b32_e32 v68, 0xffff, v58
	v_and_b32_e32 v135, 0xffff, v90
	s_delay_alu instid0(VALU_DEP_3) | instskip(NEXT) | instid1(VALU_DEP_3)
	v_sub_nc_u16 v91, v56, v91
	v_mul_u32_u24_e32 v92, 0xcccd, v68
	s_delay_alu instid0(VALU_DEP_2) | instskip(NEXT) | instid1(VALU_DEP_2)
	v_and_b32_e32 v133, 0xffff, v91
	v_lshrrev_b32_e32 v134, 19, v92
	v_mul_u32_u24_e32 v91, 0xcccd, v69
	s_delay_alu instid0(VALU_DEP_3) | instskip(NEXT) | instid1(VALU_DEP_3)
	v_lshlrev_b32_e32 v92, 4, v133
	v_mul_lo_u16 v93, v134, 10
	s_delay_alu instid0(VALU_DEP_3)
	v_lshrrev_b32_e32 v136, 19, v91
	v_lshlrev_b32_e32 v91, 4, v135
	global_load_b128 v[114:117], v92, s[4:5]
	v_sub_nc_u16 v90, v58, v93
	v_mul_lo_u16 v92, v136, 10
	global_load_b128 v[118:121], v91, s[4:5]
	v_and_b32_e32 v137, 0xffff, v90
	v_sub_nc_u16 v90, v59, v92
	s_delay_alu instid0(VALU_DEP_1) | instskip(NEXT) | instid1(VALU_DEP_1)
	v_and_b32_e32 v138, 0xffff, v90
	v_lshlrev_b32_e32 v90, 4, v138
	global_load_b128 v[126:129], v90, s[4:5]
	v_lshlrev_b32_e32 v91, 4, v137
	global_load_b128 v[122:125], v91, s[4:5]
	ds_load_2addr_b32 v[90:91], v46 offset0:42 offset1:123
	ds_load_2addr_b32 v[92:93], v47 offset0:84 offset1:165
	;; [unrolled: 1-line block ×3, first 2 shown]
	s_wait_loadcnt_dscnt 0x902
	v_mul_f32_e32 v139, v90, v79
	v_mul_f32_e32 v79, v40, v79
	s_wait_dscnt 0x1
	v_mul_f32_e32 v140, v92, v81
	v_mul_f32_e32 v81, v38, v81
	v_fmac_f32_e32 v139, v40, v78
	v_fma_f32 v141, v90, v78, -v79
	s_delay_alu instid0(VALU_DEP_4) | instskip(NEXT) | instid1(VALU_DEP_4)
	v_fmac_f32_e32 v140, v38, v80
	v_fma_f32 v142, v92, v80, -v81
	s_wait_loadcnt 0x8
	v_mul_f32_e32 v100, v91, v83
	v_mul_f32_e32 v40, v41, v83
	;; [unrolled: 1-line block ×4, first 2 shown]
	s_delay_alu instid0(VALU_DEP_4)
	v_fmac_f32_e32 v100, v41, v82
	ds_load_2addr_b32 v[130:131], v49 offset0:118 offset1:199
	v_fma_f32 v143, v91, v82, -v40
	v_fma_f32 v144, v93, v84, -v78
	v_fmac_f32_e32 v101, v39, v84
	s_wait_loadcnt_dscnt 0x701
	v_mul_f32_e32 v85, v98, v87
	ds_load_2addr_b32 v[38:39], v52 offset0:152 offset1:233
	v_mul_f32_e32 v79, v36, v87
	s_wait_dscnt 0x1
	v_mul_f32_e32 v93, v130, v89
	v_fmac_f32_e32 v85, v36, v86
	v_mul_f32_e32 v36, v24, v89
	v_fma_f32 v96, v98, v86, -v79
	s_delay_alu instid0(VALU_DEP_4) | instskip(NEXT) | instid1(VALU_DEP_3)
	v_fmac_f32_e32 v93, v24, v88
	v_fma_f32 v94, v130, v88, -v36
	s_wait_loadcnt_dscnt 0x500
	v_dual_mul_f32 v83, v38, v109 :: v_dual_mul_f32 v78, v37, v103
	ds_load_2addr_b32 v[40:41], v51 offset0:110 offset1:191
	v_mul_f32_e32 v91, v99, v103
	v_mul_f32_e32 v95, v131, v105
	;; [unrolled: 1-line block ×3, first 2 shown]
	v_fma_f32 v98, v99, v102, -v78
	v_fmac_f32_e32 v83, v20, v108
	v_fmac_f32_e32 v91, v37, v102
	;; [unrolled: 1-line block ×3, first 2 shown]
	ds_load_2addr_b32 v[24:25], v54 offset0:16 offset1:97
	v_mul_f32_e32 v37, v22, v107
	v_fma_f32 v99, v131, v104, -v36
	v_mul_f32_e32 v36, v20, v109
	s_wait_loadcnt 0x4
	v_mul_f32_e32 v86, v39, v113
	v_mul_lo_u16 v74, 0x89, v74
	s_delay_alu instid0(VALU_DEP_3) | instskip(SKIP_1) | instid1(VALU_DEP_4)
	v_fma_f32 v82, v38, v108, -v36
	v_mul_f32_e32 v36, v21, v113
	v_fmac_f32_e32 v86, v21, v112
	ds_load_2addr_b32 v[20:21], v62 offset0:92 offset1:173
	s_wait_dscnt 0x2
	v_mul_f32_e32 v78, v40, v107
	v_mul_f32_e32 v79, v41, v111
	v_fma_f32 v88, v40, v106, -v37
	v_fma_f32 v92, v39, v112, -v36
	s_delay_alu instid0(VALU_DEP_4) | instskip(SKIP_3) | instid1(VALU_DEP_2)
	v_fmac_f32_e32 v78, v22, v106
	ds_load_2addr_b32 v[102:103], v55 offset0:58 offset1:139
	v_mul_f32_e32 v22, v23, v111
	v_fmac_f32_e32 v79, v23, v110
	v_fma_f32 v90, v41, v110, -v22
	ds_load_2addr_b32 v[22:23], v61 offset0:50 offset1:131
	s_wait_loadcnt_dscnt 0x303
	v_mul_f32_e32 v40, v24, v115
	v_mul_f32_e32 v37, v18, v115
	;; [unrolled: 1-line block ×3, first 2 shown]
	s_wait_loadcnt 0x2
	v_mul_f32_e32 v38, v25, v119
	v_fmac_f32_e32 v40, v18, v114
	v_fma_f32 v89, v24, v114, -v37
	v_mul_f32_e32 v18, v19, v119
	s_delay_alu instid0(VALU_DEP_4)
	v_fmac_f32_e32 v38, v19, v118
	v_mul_f32_e32 v19, v43, v121
	s_wait_dscnt 0x1
	v_mul_f32_e32 v80, v102, v117
	v_fma_f32 v84, v102, v116, -v36
	v_fma_f32 v87, v25, v118, -v18
	s_delay_alu instid0(VALU_DEP_3) | instskip(SKIP_4) | instid1(VALU_DEP_3)
	v_fmac_f32_e32 v80, v42, v116
	v_mul_f32_e32 v42, v103, v121
	v_sub_f32_e32 v121, v139, v140
	s_wait_loadcnt_dscnt 0x100
	v_mul_f32_e32 v36, v23, v127
	v_fmac_f32_e32 v42, v43, v120
	v_fma_f32 v43, v103, v120, -v19
	v_mul_f32_e32 v112, v21, v129
	ds_load_2addr_b32 v[102:103], v1 offset1:81
	ds_load_2addr_b32 v[104:105], v1 offset0:162 offset1:243
	s_wait_loadcnt 0x0
	v_dual_fmac_f32 v36, v17, v126 :: v_dual_mul_f32 v37, v22, v123
	v_mul_f32_e32 v39, v20, v125
	v_dual_mul_f32 v18, v16, v123 :: v_dual_mul_f32 v19, v14, v125
	s_delay_alu instid0(VALU_DEP_3) | instskip(NEXT) | instid1(VALU_DEP_3)
	v_dual_fmac_f32 v112, v15, v128 :: v_dual_fmac_f32 v37, v16, v122
	v_dual_mul_f32 v16, v17, v127 :: v_dual_fmac_f32 v39, v14, v124
	v_and_b32_e32 v14, 0xffff, v76
	s_delay_alu instid0(VALU_DEP_4) | instskip(SKIP_1) | instid1(VALU_DEP_4)
	v_fma_f32 v41, v20, v124, -v19
	v_lshlrev_b32_e32 v17, 2, v29
	v_fma_f32 v76, v23, v126, -v16
	v_mul_f32_e32 v16, v15, v129
	v_add_f32_e32 v19, v139, v140
	v_sub_f32_e32 v15, v141, v142
	v_mul_u32_u24_e32 v14, 0x78, v14
	v_fma_f32 v81, v22, v122, -v18
	v_add_f32_e32 v18, v12, v139
	v_fma_f32 v12, -0.5, v19, v12
	ds_load_2addr_b32 v[106:107], v50 offset0:68 offset1:149
	ds_load_2addr_b32 v[108:109], v53 offset0:102 offset1:183
	;; [unrolled: 1-line block ×3, first 2 shown]
	v_add3_u32 v114, 0, v14, v17
	v_and_b32_e32 v17, 0xffff, v26
	v_fma_f32 v113, v21, v128, -v16
	v_fmamk_f32 v16, v15, 0xbf5db3d7, v12
	v_fmac_f32_e32 v12, 0x3f5db3d7, v15
	global_wb scope:SCOPE_SE
	s_wait_dscnt 0x0
	v_mul_u32_u24_e32 v15, 0x78, v17
	v_add_f32_e32 v17, v13, v100
	v_add_f32_e32 v14, v18, v140
	s_barrier_signal -1
	s_barrier_wait -1
	global_inv scope:SCOPE_SE
	v_add_f32_e32 v18, v10, v85
	ds_store_2addr_b32 v114, v14, v16 offset1:10
	v_add_f32_e32 v14, v100, v101
	v_lshlrev_b32_e32 v16, 2, v30
	v_add_f32_e32 v122, v143, v144
	v_dual_add_f32 v123, v103, v143 :: v_dual_sub_f32 v100, v100, v101
	s_delay_alu instid0(VALU_DEP_4) | instskip(NEXT) | instid1(VALU_DEP_4)
	v_dual_fmac_f32 v13, -0.5, v14 :: v_dual_sub_f32 v14, v143, v144
	v_add3_u32 v115, 0, v15, v16
	v_add_f32_e32 v15, v17, v101
	v_add_f32_e32 v17, v85, v93
	ds_store_b32 v114, v12 offset:80
	v_dual_fmac_f32 v103, -0.5, v122 :: v_dual_and_b32 v12, 0xffff, v28
	v_sub_f32_e32 v85, v85, v93
	v_fma_f32 v10, -0.5, v17, v10
	v_dual_sub_f32 v17, v96, v94 :: v_dual_fmamk_f32 v16, v14, 0xbf5db3d7, v13
	v_dual_fmac_f32 v13, 0x3f5db3d7, v14 :: v_dual_lshlrev_b32 v14, 2, v32
	v_mul_u32_u24_e32 v12, 0x78, v12
	ds_store_2addr_b32 v115, v15, v16 offset1:10
	ds_store_b32 v115, v13 offset:80
	v_fmamk_f32 v13, v17, 0xbf5db3d7, v10
	v_mul_u32_u24_e32 v15, 0x78, v27
	v_add3_u32 v116, 0, v12, v14
	v_add_f32_e32 v12, v18, v93
	v_add_f32_e32 v14, v91, v95
	v_lshlrev_b32_e32 v16, 2, v35
	v_fmac_f32_e32 v10, 0x3f5db3d7, v17
	v_add_f32_e32 v18, v11, v91
	ds_store_2addr_b32 v116, v12, v13 offset1:10
	v_add_f32_e32 v13, v78, v83
	v_add_f32_e32 v17, v6, v78
	v_dual_fmac_f32 v11, -0.5, v14 :: v_dual_sub_f32 v14, v98, v99
	v_add3_u32 v35, 0, v15, v16
	v_mul_u32_u24_e32 v15, 0x78, v31
	v_lshlrev_b32_e32 v16, 2, v77
	v_fma_f32 v6, -0.5, v13, v6
	v_dual_sub_f32 v13, v88, v82 :: v_dual_add_f32 v12, v18, v95
	v_fmamk_f32 v18, v14, 0xbf5db3d7, v11
	v_fmac_f32_e32 v11, 0x3f5db3d7, v14
	v_add3_u32 v77, 0, v15, v16
	v_add_f32_e32 v14, v17, v83
	v_fmamk_f32 v15, v13, 0xbf5db3d7, v6
	ds_store_b32 v116, v10 offset:80
	ds_store_2addr_b32 v35, v12, v18 offset1:10
	ds_store_b32 v35, v11 offset:80
	v_dual_add_f32 v10, v79, v86 :: v_dual_lshlrev_b32 v17, 2, v135
	v_mul_u32_u24_e32 v11, 0x78, v33
	v_lshlrev_b32_e32 v12, 2, v132
	ds_store_2addr_b32 v77, v14, v15 offset1:10
	v_dual_add_f32 v14, v7, v79 :: v_dual_fmac_f32 v7, -0.5, v10
	v_sub_f32_e32 v10, v90, v92
	v_fmac_f32_e32 v6, 0x3f5db3d7, v13
	v_add3_u32 v117, 0, v11, v12
	s_delay_alu instid0(VALU_DEP_4) | instskip(NEXT) | instid1(VALU_DEP_4)
	v_dual_add_f32 v12, v40, v80 :: v_dual_add_f32 v11, v14, v86
	v_fmamk_f32 v13, v10, 0xbf5db3d7, v7
	v_mul_u32_u24_e32 v14, 0x78, v34
	v_lshlrev_b32_e32 v15, 2, v133
	v_fmac_f32_e32 v7, 0x3f5db3d7, v10
	v_add_f32_e32 v10, v38, v42
	ds_store_b32 v77, v6 offset:80
	v_fma_f32 v6, -0.5, v12, v4
	v_sub_f32_e32 v12, v89, v84
	v_add_f32_e32 v4, v4, v40
	v_add3_u32 v118, 0, v14, v15
	v_add_f32_e32 v15, v5, v38
	v_mul_u32_u24_e32 v16, 0x78, v97
	v_dual_fmac_f32 v5, -0.5, v10 :: v_dual_sub_f32 v10, v87, v43
	v_fmamk_f32 v14, v12, 0xbf5db3d7, v6
	v_add_f32_e32 v4, v4, v80
	v_fmac_f32_e32 v6, 0x3f5db3d7, v12
	v_add3_u32 v97, 0, v16, v17
	v_dual_add_f32 v12, v15, v42 :: v_dual_fmamk_f32 v15, v10, 0xbf5db3d7, v5
	ds_store_2addr_b32 v117, v11, v13 offset1:10
	ds_store_b32 v117, v7 offset:80
	ds_store_2addr_b32 v118, v4, v14 offset1:10
	ds_store_b32 v118, v6 offset:80
	ds_store_2addr_b32 v97, v12, v15 offset1:10
	v_add_f32_e32 v4, v37, v39
	v_mul_u32_u24_e32 v6, 0x78, v134
	v_lshlrev_b32_e32 v7, 2, v137
	v_dual_fmac_f32 v5, 0x3f5db3d7, v10 :: v_dual_add_f32 v10, v8, v37
	s_delay_alu instid0(VALU_DEP_4) | instskip(SKIP_1) | instid1(VALU_DEP_4)
	v_fma_f32 v4, -0.5, v4, v8
	v_fmamk_f32 v122, v100, 0x3f5db3d7, v103
	v_add3_u32 v119, 0, v6, v7
	v_add_f32_e32 v6, v36, v112
	v_dual_fmac_f32 v103, 0xbf5db3d7, v100 :: v_dual_sub_f32 v78, v78, v83
	v_add_f32_e32 v100, v98, v99
	v_sub_f32_e32 v8, v81, v41
	ds_store_b32 v97, v5 offset:80
	v_dual_add_f32 v5, v10, v39 :: v_dual_add_f32 v10, v9, v36
	v_sub_f32_e32 v91, v91, v95
	v_dual_fmac_f32 v9, -0.5, v6 :: v_dual_sub_f32 v6, v76, v113
	v_add_f32_e32 v93, v105, v98
	v_fmac_f32_e32 v105, -0.5, v100
	v_fmamk_f32 v7, v8, 0xbf5db3d7, v4
	v_fmac_f32_e32 v4, 0x3f5db3d7, v8
	v_mul_u32_u24_e32 v11, 0x78, v136
	v_dual_sub_f32 v37, v37, v39 :: v_dual_lshlrev_b32 v12, 2, v138
	ds_store_2addr_b32 v119, v5, v7 offset1:10
	ds_store_b32 v119, v4 offset:80
	v_dual_add_f32 v4, v141, v142 :: v_dual_fmamk_f32 v7, v6, 0xbf5db3d7, v9
	v_dual_fmac_f32 v9, 0x3f5db3d7, v6 :: v_dual_add_f32 v6, v102, v141
	v_add3_u32 v120, 0, v11, v12
	s_delay_alu instid0(VALU_DEP_3)
	v_fma_f32 v102, -0.5, v4, v102
	v_add_f32_e32 v5, v10, v112
	ds_store_2addr_b32 v120, v5, v7 offset1:10
	ds_store_b32 v120, v9 offset:80
	v_dual_add_f32 v34, v6, v142 :: v_dual_fmamk_f32 v101, v121, 0x3f5db3d7, v102
	v_dual_fmac_f32 v102, 0xbf5db3d7, v121 :: v_dual_add_f32 v121, v123, v144
	global_wb scope:SCOPE_SE
	s_wait_dscnt 0x0
	s_barrier_signal -1
	s_barrier_wait -1
	global_inv scope:SCOPE_SE
	ds_load_2addr_b32 v[12:13], v1 offset1:81
	ds_load_2addr_b32 v[32:33], v46 offset0:42 offset1:123
	ds_load_2addr_b32 v[30:31], v47 offset0:84 offset1:165
	;; [unrolled: 1-line block ×14, first 2 shown]
	global_wb scope:SCOPE_SE
	s_wait_dscnt 0x0
	s_barrier_signal -1
	s_barrier_wait -1
	global_inv scope:SCOPE_SE
	ds_store_2addr_b32 v114, v34, v101 offset1:10
	ds_store_b32 v114, v102 offset:80
	ds_store_2addr_b32 v115, v121, v122 offset1:10
	v_add_f32_e32 v34, v96, v94
	v_add_f32_e32 v96, v104, v96
	ds_store_b32 v115, v103 offset:80
	v_sub_f32_e32 v40, v40, v80
	v_fma_f32 v34, -0.5, v34, v104
	s_delay_alu instid0(VALU_DEP_1)
	v_dual_add_f32 v94, v96, v94 :: v_dual_fmamk_f32 v95, v85, 0x3f5db3d7, v34
	v_dual_fmac_f32 v34, 0xbf5db3d7, v85 :: v_dual_add_f32 v85, v93, v99
	v_fmamk_f32 v93, v91, 0x3f5db3d7, v105
	v_fmac_f32_e32 v105, 0xbf5db3d7, v91
	ds_store_2addr_b32 v116, v94, v95 offset1:10
	ds_store_b32 v116, v34 offset:80
	ds_store_2addr_b32 v35, v85, v93 offset1:10
	v_dual_add_f32 v34, v88, v82 :: v_dual_add_f32 v85, v106, v88
	ds_store_b32 v35, v105 offset:80
	v_add_f32_e32 v35, v90, v92
	v_fma_f32 v83, -0.5, v34, v106
	s_delay_alu instid0(VALU_DEP_2) | instskip(SKIP_1) | instid1(VALU_DEP_3)
	v_dual_add_f32 v34, v107, v90 :: v_dual_fmac_f32 v107, -0.5, v35
	v_sub_f32_e32 v35, v79, v86
	v_dual_add_f32 v79, v85, v82 :: v_dual_fmamk_f32 v82, v78, 0x3f5db3d7, v83
	s_delay_alu instid0(VALU_DEP_3) | instskip(NEXT) | instid1(VALU_DEP_3)
	v_dual_fmac_f32 v83, 0xbf5db3d7, v78 :: v_dual_add_f32 v78, v34, v92
	v_dual_add_f32 v34, v89, v84 :: v_dual_fmamk_f32 v85, v35, 0x3f5db3d7, v107
	v_fmac_f32_e32 v107, 0xbf5db3d7, v35
	v_add_f32_e32 v35, v87, v43
	s_delay_alu instid0(VALU_DEP_3) | instskip(SKIP_1) | instid1(VALU_DEP_3)
	v_fma_f32 v80, -0.5, v34, v108
	v_add_f32_e32 v34, v109, v87
	v_fmac_f32_e32 v109, -0.5, v35
	s_delay_alu instid0(VALU_DEP_3) | instskip(SKIP_3) | instid1(VALU_DEP_4)
	v_dual_sub_f32 v35, v38, v42 :: v_dual_fmamk_f32 v38, v40, 0x3f5db3d7, v80
	v_fmac_f32_e32 v80, 0xbf5db3d7, v40
	v_add_f32_e32 v40, v81, v41
	v_add_f32_e32 v42, v34, v43
	v_dual_add_f32 v34, v110, v81 :: v_dual_fmamk_f32 v43, v35, 0x3f5db3d7, v109
	v_fmac_f32_e32 v109, 0xbf5db3d7, v35
	s_delay_alu instid0(VALU_DEP_4) | instskip(SKIP_1) | instid1(VALU_DEP_4)
	v_fma_f32 v39, -0.5, v40, v110
	v_add_f32_e32 v35, v76, v113
	v_add_f32_e32 v40, v34, v41
	v_mul_lo_u16 v34, 0x89, v75
	v_dual_add_f32 v75, v111, v76 :: v_dual_add_f32 v86, v108, v89
	v_fmamk_f32 v41, v37, 0x3f5db3d7, v39
	v_fmac_f32_e32 v111, -0.5, v35
	s_delay_alu instid0(VALU_DEP_4) | instskip(NEXT) | instid1(VALU_DEP_4)
	v_lshrrev_b16 v34, 12, v34
	v_dual_sub_f32 v35, v36, v112 :: v_dual_add_f32 v36, v75, v113
	v_dual_add_f32 v84, v86, v84 :: v_dual_fmac_f32 v39, 0xbf5db3d7, v37
	s_delay_alu instid0(VALU_DEP_3) | instskip(NEXT) | instid1(VALU_DEP_3)
	v_mul_lo_u16 v75, v34, 30
	v_fmamk_f32 v37, v35, 0x3f5db3d7, v111
	v_fmac_f32_e32 v111, 0xbf5db3d7, v35
	ds_store_2addr_b32 v77, v79, v82 offset1:10
	ds_store_b32 v77, v83 offset:80
	ds_store_2addr_b32 v117, v78, v85 offset1:10
	ds_store_b32 v117, v107 offset:80
	v_sub_nc_u16 v35, v0, v75
	ds_store_2addr_b32 v118, v84, v38 offset1:10
	ds_store_b32 v118, v80 offset:80
	ds_store_2addr_b32 v97, v42, v43 offset1:10
	ds_store_b32 v97, v109 offset:80
	;; [unrolled: 2-line block ×4, first 2 shown]
	v_mul_lo_u16 v37, 0x89, v70
	v_and_b32_e32 v38, 0xff, v35
	v_lshrrev_b16 v35, 12, v74
	v_mul_u32_u24_e32 v40, 0x8889, v73
	global_wb scope:SCOPE_SE
	s_wait_dscnt 0x0
	v_lshrrev_b16 v37, 12, v37
	v_lshlrev_b32_e32 v39, 4, v38
	v_mul_lo_u16 v36, v35, 30
	s_barrier_signal -1
	s_barrier_wait -1
	v_mul_lo_u16 v42, v37, 30
	global_inv scope:SCOPE_SE
	v_sub_nc_u16 v41, v65, v36
	v_lshrrev_b32_e32 v36, 20, v40
	global_load_b128 v[81:84], v39, s[4:5] offset:160
	v_mul_u32_u24_e32 v74, 0x8889, v72
	v_mul_u32_u24_e32 v77, 0x8889, v67
	v_and_b32_e32 v40, 0xff, v41
	v_sub_nc_u16 v41, v64, v42
	v_mul_u32_u24_e32 v78, 0x8889, v66
	v_mul_u32_u24_e32 v72, 0x2d83, v72
	s_delay_alu instid0(VALU_DEP_3) | instskip(NEXT) | instid1(VALU_DEP_1)
	v_and_b32_e32 v43, 0xff, v41
	v_lshlrev_b32_e32 v41, 4, v43
	global_load_b128 v[89:92], v41, s[4:5] offset:160
	v_mul_lo_u16 v39, v36, 30
	v_lshlrev_b32_e32 v42, 4, v40
	s_delay_alu instid0(VALU_DEP_2)
	v_sub_nc_u16 v75, v45, v39
	v_lshrrev_b32_e32 v39, 20, v74
	v_mul_u32_u24_e32 v74, 0x8889, v71
	global_load_b128 v[85:88], v42, s[4:5] offset:160
	v_and_b32_e32 v42, 0xffff, v75
	v_mul_lo_u16 v75, v39, 30
	v_lshrrev_b32_e32 v41, 20, v74
	s_delay_alu instid0(VALU_DEP_3) | instskip(NEXT) | instid1(VALU_DEP_3)
	v_lshlrev_b32_e32 v76, 4, v42
	v_sub_nc_u16 v74, v57, v75
	s_delay_alu instid0(VALU_DEP_3) | instskip(SKIP_4) | instid1(VALU_DEP_3)
	v_mul_lo_u16 v75, v41, 30
	global_load_b128 v[109:112], v76, s[4:5] offset:160
	v_and_b32_e32 v76, 0xffff, v74
	v_sub_nc_u16 v74, v44, v75
	v_lshrrev_b32_e32 v75, 20, v77
	v_lshlrev_b32_e32 v77, 4, v76
	s_delay_alu instid0(VALU_DEP_2)
	v_mul_lo_u16 v79, v75, 30
	global_load_b128 v[113:116], v77, s[4:5] offset:160
	v_and_b32_e32 v80, 0xffff, v74
	v_lshrrev_b32_e32 v74, 20, v78
	v_sub_nc_u16 v78, v56, v79
	v_mul_u32_u24_e32 v79, 0x8889, v68
	s_delay_alu instid0(VALU_DEP_3) | instskip(NEXT) | instid1(VALU_DEP_3)
	v_mul_lo_u16 v93, v74, 30
	v_and_b32_e32 v137, 0xffff, v78
	s_delay_alu instid0(VALU_DEP_3) | instskip(SKIP_1) | instid1(VALU_DEP_3)
	v_lshrrev_b32_e32 v96, 20, v79
	v_mul_u32_u24_e32 v78, 0x8889, v69
	v_lshlrev_b32_e32 v79, 4, v137
	s_delay_alu instid0(VALU_DEP_2)
	v_lshrrev_b32_e32 v139, 20, v78
	global_load_b128 v[121:124], v79, s[4:5] offset:160
	v_lshlrev_b32_e32 v77, 4, v80
	v_mul_lo_u16 v79, v139, 30
	global_load_b128 v[117:120], v77, s[4:5] offset:160
	v_sub_nc_u16 v77, v63, v93
	v_mul_lo_u16 v93, v96, 30
	s_delay_alu instid0(VALU_DEP_2) | instskip(NEXT) | instid1(VALU_DEP_2)
	v_and_b32_e32 v138, 0xffff, v77
	v_sub_nc_u16 v77, v58, v93
	s_delay_alu instid0(VALU_DEP_2) | instskip(NEXT) | instid1(VALU_DEP_2)
	v_lshlrev_b32_e32 v78, 4, v138
	v_and_b32_e32 v140, 0xffff, v77
	v_sub_nc_u16 v77, v59, v79
	global_load_b128 v[125:128], v78, s[4:5] offset:160
	v_and_b32_e32 v141, 0xffff, v77
	s_delay_alu instid0(VALU_DEP_1)
	v_lshlrev_b32_e32 v77, 4, v141
	global_load_b128 v[133:136], v77, s[4:5] offset:160
	v_lshlrev_b32_e32 v78, 4, v140
	global_load_b128 v[129:132], v78, s[4:5] offset:160
	ds_load_2addr_b32 v[77:78], v46 offset0:42 offset1:123
	ds_load_2addr_b32 v[93:94], v47 offset0:84 offset1:165
	;; [unrolled: 1-line block ×4, first 2 shown]
	s_wait_loadcnt 0x9
	v_mul_f32_e32 v79, v32, v82
	s_wait_dscnt 0x3
	v_mul_f32_e32 v142, v77, v82
	v_mul_f32_e32 v82, v30, v84
	s_wait_dscnt 0x2
	v_mul_f32_e32 v143, v93, v84
	v_fma_f32 v144, v77, v81, -v79
	s_delay_alu instid0(VALU_DEP_3) | instskip(NEXT) | instid1(VALU_DEP_3)
	v_fma_f32 v145, v93, v83, -v82
	v_fmac_f32_e32 v143, v30, v83
	s_wait_loadcnt_dscnt 0x800
	v_mul_f32_e32 v102, v106, v92
	v_mul_f32_e32 v98, v100, v90
	s_delay_alu instid0(VALU_DEP_2) | instskip(SKIP_1) | instid1(VALU_DEP_2)
	v_fmac_f32_e32 v102, v26, v91
	s_wait_loadcnt 0x7
	v_dual_fmac_f32 v98, v28, v89 :: v_dual_mul_f32 v77, v31, v88
	v_mul_f32_e32 v30, v33, v86
	v_mul_f32_e32 v108, v78, v86
	s_delay_alu instid0(VALU_DEP_3) | instskip(SKIP_1) | instid1(VALU_DEP_4)
	v_fma_f32 v148, v94, v87, -v77
	v_mul_f32_e32 v77, v26, v92
	v_fma_f32 v147, v78, v85, -v30
	v_mul_f32_e32 v78, v28, v90
	s_delay_alu instid0(VALU_DEP_3)
	v_fma_f32 v103, v106, v91, -v77
	s_wait_loadcnt 0x6
	v_mul_f32_e32 v104, v107, v112
	v_mul_f32_e32 v77, v27, v112
	v_fma_f32 v105, v100, v89, -v78
	v_mul_f32_e32 v100, v101, v110
	v_mul_f32_e32 v28, v29, v110
	v_fmac_f32_e32 v104, v27, v111
	ds_load_2addr_b32 v[26:27], v54 offset0:16 offset1:97
	v_fmac_f32_e32 v142, v32, v81
	v_fma_f32 v107, v107, v111, -v77
	v_fma_f32 v106, v101, v109, -v28
	s_wait_loadcnt 0x5
	v_dual_mul_f32 v77, v22, v116 :: v_dual_mul_f32 v78, v24, v114
	s_wait_loadcnt_dscnt 0x200
	v_dual_mul_f32 v83, v27, v126 :: v_dual_mul_f32 v146, v94, v88
	v_fmac_f32_e32 v100, v29, v109
	ds_load_2addr_b32 v[28:29], v55 offset0:58 offset1:139
	v_fmac_f32_e32 v108, v33, v85
	v_dual_fmac_f32 v83, v21, v125 :: v_dual_fmac_f32 v146, v31, v87
	ds_load_2addr_b32 v[30:31], v52 offset0:152 offset1:233
	ds_load_2addr_b32 v[32:33], v51 offset0:110 offset1:191
	s_wait_dscnt 0x2
	v_dual_mul_f32 v82, v26, v122 :: v_dual_mul_f32 v87, v28, v124
	v_mul_f32_e32 v89, v29, v128
	s_wait_dscnt 0x1
	v_mul_f32_e32 v91, v30, v116
	v_mul_f32_e32 v92, v31, v120
	v_fma_f32 v90, v30, v115, -v77
	s_wait_dscnt 0x0
	v_dual_mul_f32 v30, v23, v120 :: v_dual_mul_f32 v85, v32, v114
	v_fmac_f32_e32 v91, v22, v115
	v_fmac_f32_e32 v92, v23, v119
	ds_load_2addr_b32 v[22:23], v62 offset0:92 offset1:173
	v_fma_f32 v97, v32, v113, -v78
	v_dual_mul_f32 v32, v20, v122 :: v_dual_fmac_f32 v89, v19, v127
	v_dual_fmac_f32 v85, v24, v113 :: v_dual_mul_f32 v86, v33, v118
	v_fma_f32 v101, v31, v119, -v30
	v_mul_f32_e32 v30, v18, v124
	v_dual_fmac_f32 v87, v18, v123 :: v_dual_mul_f32 v18, v21, v126
	s_delay_alu instid0(VALU_DEP_4) | instskip(SKIP_1) | instid1(VALU_DEP_3)
	v_fmac_f32_e32 v86, v25, v117
	v_fma_f32 v93, v26, v121, -v32
	v_fma_f32 v95, v27, v125, -v18
	s_wait_loadcnt_dscnt 0x0
	v_dual_mul_f32 v18, v16, v130 :: v_dual_mul_f32 v79, v22, v132
	v_fmac_f32_e32 v82, v20, v121
	v_mul_f32_e32 v20, v19, v128
	v_mul_f32_e32 v19, v14, v132
	s_delay_alu instid0(VALU_DEP_4) | instskip(SKIP_1) | instid1(VALU_DEP_3)
	v_dual_mul_f32 v120, v23, v136 :: v_dual_fmac_f32 v79, v14, v131
	v_and_b32_e32 v14, 0xffff, v34
	v_fma_f32 v84, v22, v131, -v19
	v_dual_add_f32 v19, v142, v143 :: v_dual_mul_f32 v24, v25, v118
	s_delay_alu instid0(VALU_DEP_4) | instskip(NEXT) | instid1(VALU_DEP_4)
	v_fmac_f32_e32 v120, v15, v135
	v_mul_u32_u24_e32 v14, 0x168, v14
	s_delay_alu instid0(VALU_DEP_3)
	v_fma_f32 v99, v33, v117, -v24
	ds_load_2addr_b32 v[24:25], v61 offset0:50 offset1:131
	ds_load_2addr_b32 v[109:110], v1 offset1:81
	ds_load_2addr_b32 v[111:112], v1 offset0:162 offset1:243
	ds_load_2addr_b32 v[113:114], v50 offset0:68 offset1:149
	;; [unrolled: 1-line block ×4, first 2 shown]
	global_wb scope:SCOPE_SE
	s_wait_dscnt 0x0
	s_barrier_signal -1
	s_barrier_wait -1
	global_inv scope:SCOPE_SE
	v_mul_f32_e32 v77, v24, v130
	v_fma_f32 v81, v24, v129, -v18
	v_add_f32_e32 v18, v12, v142
	v_fma_f32 v12, -0.5, v19, v12
	v_lshlrev_b32_e32 v19, 2, v76
	v_dual_fmac_f32 v77, v16, v129 :: v_dual_mul_f32 v16, v17, v134
	s_delay_alu instid0(VALU_DEP_1) | instskip(SKIP_2) | instid1(VALU_DEP_1)
	v_fma_f32 v119, v25, v133, -v16
	v_dual_mul_f32 v16, v15, v136 :: v_dual_sub_f32 v15, v144, v145
	v_mul_f32_e32 v78, v25, v134
	v_dual_fmac_f32 v78, v17, v133 :: v_dual_lshlrev_b32 v17, 2, v38
	s_delay_alu instid0(VALU_DEP_3) | instskip(NEXT) | instid1(VALU_DEP_4)
	v_fma_f32 v38, v23, v135, -v16
	v_fmamk_f32 v16, v15, 0xbf5db3d7, v12
	v_dual_fmac_f32 v12, 0x3f5db3d7, v15 :: v_dual_add_f32 v15, v13, v108
	s_delay_alu instid0(VALU_DEP_4) | instskip(SKIP_2) | instid1(VALU_DEP_4)
	v_add3_u32 v121, 0, v14, v17
	v_add_f32_e32 v14, v18, v143
	v_dual_add_f32 v18, v98, v102 :: v_dual_and_b32 v17, 0xffff, v35
	v_add_f32_e32 v15, v15, v146
	ds_store_b32 v121, v12 offset:240
	ds_store_2addr_b32 v121, v14, v16 offset1:30
	v_add_f32_e32 v14, v108, v146
	v_mul_u32_u24_e32 v16, 0x168, v17
	v_lshlrev_b32_e32 v17, 2, v40
	s_delay_alu instid0(VALU_DEP_3) | instskip(SKIP_1) | instid1(VALU_DEP_3)
	v_dual_fmac_f32 v13, -0.5, v14 :: v_dual_and_b32 v12, 0xffff, v37
	v_sub_f32_e32 v14, v147, v148
	v_add3_u32 v40, 0, v16, v17
	s_delay_alu instid0(VALU_DEP_3)
	v_mul_u32_u24_e32 v12, 0x168, v12
	v_add_f32_e32 v17, v10, v98
	v_fma_f32 v10, -0.5, v18, v10
	v_fmamk_f32 v16, v14, 0xbf5db3d7, v13
	v_dual_fmac_f32 v13, 0x3f5db3d7, v14 :: v_dual_lshlrev_b32 v14, 2, v43
	ds_store_2addr_b32 v40, v15, v16 offset1:30
	ds_store_b32 v40, v13 offset:240
	v_add_f32_e32 v13, v100, v104
	v_add3_u32 v43, 0, v12, v14
	v_sub_f32_e32 v14, v105, v103
	v_dual_add_f32 v12, v17, v102 :: v_dual_add_f32 v15, v11, v100
	v_mul_u32_u24_e32 v16, 0x168, v36
	v_lshlrev_b32_e32 v17, 2, v42
	v_fmac_f32_e32 v11, -0.5, v13
	v_sub_f32_e32 v13, v106, v107
	v_fmamk_f32 v18, v14, 0xbf5db3d7, v10
	v_fmac_f32_e32 v10, 0x3f5db3d7, v14
	v_add_f32_e32 v14, v85, v91
	v_add3_u32 v42, 0, v16, v17
	v_fmamk_f32 v16, v13, 0xbf5db3d7, v11
	v_mul_u32_u24_e32 v17, 0x168, v39
	v_fmac_f32_e32 v11, 0x3f5db3d7, v13
	v_fma_f32 v94, v29, v127, -v20
	v_add_f32_e32 v20, v8, v85
	v_fma_f32 v8, -0.5, v14, v8
	v_dual_sub_f32 v14, v97, v90 :: v_dual_add_f32 v13, v15, v104
	v_add3_u32 v39, 0, v17, v19
	s_delay_alu instid0(VALU_DEP_4) | instskip(SKIP_1) | instid1(VALU_DEP_4)
	v_add_f32_e32 v15, v20, v91
	v_fma_f32 v88, v28, v123, -v30
	v_fmamk_f32 v17, v14, 0xbf5db3d7, v8
	ds_store_2addr_b32 v43, v12, v18 offset1:30
	ds_store_b32 v43, v10 offset:240
	ds_store_2addr_b32 v42, v13, v16 offset1:30
	ds_store_b32 v42, v11 offset:240
	ds_store_2addr_b32 v39, v15, v17 offset1:30
	v_fmac_f32_e32 v8, 0x3f5db3d7, v14
	v_mul_u32_u24_e32 v11, 0x168, v41
	v_lshlrev_b32_e32 v12, 2, v80
	v_dual_add_f32 v10, v86, v92 :: v_dual_add_f32 v13, v9, v86
	ds_store_b32 v39, v8 offset:240
	v_add_f32_e32 v8, v82, v87
	v_add3_u32 v41, 0, v11, v12
	v_mul_u32_u24_e32 v11, 0x168, v75
	v_dual_fmac_f32 v9, -0.5, v10 :: v_dual_lshlrev_b32 v12, 2, v137
	v_sub_f32_e32 v10, v99, v101
	v_fma_f32 v8, -0.5, v8, v6
	v_sub_f32_e32 v14, v93, v88
	s_delay_alu instid0(VALU_DEP_4)
	v_add3_u32 v75, 0, v11, v12
	v_dual_add_f32 v11, v83, v89 :: v_dual_add_f32 v6, v6, v82
	v_fmamk_f32 v15, v10, 0xbf5db3d7, v9
	v_fmac_f32_e32 v9, 0x3f5db3d7, v10
	v_fmamk_f32 v10, v14, 0xbf5db3d7, v8
	v_lshlrev_b32_e32 v16, 2, v138
	v_sub_f32_e32 v82, v82, v87
	v_fmac_f32_e32 v8, 0x3f5db3d7, v14
	v_add_f32_e32 v12, v7, v83
	v_mul_u32_u24_e32 v14, 0x168, v74
	v_fmac_f32_e32 v7, -0.5, v11
	v_sub_f32_e32 v11, v95, v94
	v_dual_add_f32 v13, v13, v92 :: v_dual_add_f32 v6, v6, v87
	v_dual_add_f32 v12, v12, v89 :: v_dual_add_f32 v87, v81, v84
	v_add3_u32 v74, 0, v14, v16
	s_delay_alu instid0(VALU_DEP_4)
	v_fmamk_f32 v14, v11, 0xbf5db3d7, v7
	ds_store_2addr_b32 v41, v13, v15 offset1:30
	ds_store_b32 v41, v9 offset:240
	ds_store_2addr_b32 v75, v6, v10 offset1:30
	ds_store_b32 v75, v8 offset:240
	ds_store_2addr_b32 v74, v12, v14 offset1:30
	v_add_f32_e32 v6, v77, v79
	v_fmac_f32_e32 v7, 0x3f5db3d7, v11
	v_mul_u32_u24_e32 v8, 0x168, v96
	v_dual_add_f32 v10, v4, v77 :: v_dual_lshlrev_b32 v9, 2, v140
	s_delay_alu instid0(VALU_DEP_4)
	v_fma_f32 v4, -0.5, v6, v4
	ds_store_b32 v74, v7 offset:240
	v_sub_f32_e32 v77, v77, v79
	v_sub_f32_e32 v6, v81, v84
	v_add3_u32 v76, 0, v8, v9
	v_add_f32_e32 v7, v10, v79
	v_add_f32_e32 v79, v117, v81
	v_fma_f32 v81, -0.5, v87, v117
	v_add_f32_e32 v8, v78, v120
	v_dual_fmamk_f32 v9, v6, 0xbf5db3d7, v4 :: v_dual_add_f32 v10, v5, v78
	v_mul_u32_u24_e32 v11, 0x168, v139
	s_delay_alu instid0(VALU_DEP_3)
	v_dual_fmac_f32 v5, -0.5, v8 :: v_dual_lshlrev_b32 v12, 2, v141
	v_sub_f32_e32 v8, v119, v38
	v_fmac_f32_e32 v4, 0x3f5db3d7, v6
	ds_store_2addr_b32 v76, v7, v9 offset1:30
	v_add3_u32 v80, 0, v11, v12
	v_dual_add_f32 v6, v10, v120 :: v_dual_fmamk_f32 v7, v8, 0xbf5db3d7, v5
	v_fmac_f32_e32 v5, 0x3f5db3d7, v8
	ds_store_b32 v76, v4 offset:240
	v_add_f32_e32 v4, v144, v145
	ds_store_2addr_b32 v80, v6, v7 offset1:30
	ds_store_b32 v80, v5 offset:240
	v_add_f32_e32 v7, v147, v148
	v_add_f32_e32 v8, v109, v144
	v_sub_f32_e32 v6, v142, v143
	v_fma_f32 v4, -0.5, v4, v109
	v_add_f32_e32 v96, v110, v147
	v_dual_fmac_f32 v110, -0.5, v7 :: v_dual_sub_f32 v7, v108, v146
	s_delay_alu instid0(VALU_DEP_3) | instskip(SKIP_1) | instid1(VALU_DEP_4)
	v_dual_add_f32 v5, v8, v145 :: v_dual_fmamk_f32 v108, v6, 0x3f5db3d7, v4
	v_fmac_f32_e32 v4, 0xbf5db3d7, v6
	v_add_f32_e32 v6, v96, v148
	s_delay_alu instid0(VALU_DEP_4)
	v_fmamk_f32 v96, v7, 0x3f5db3d7, v110
	global_wb scope:SCOPE_SE
	s_wait_dscnt 0x0
	s_barrier_signal -1
	s_barrier_wait -1
	global_inv scope:SCOPE_SE
	ds_load_2addr_b32 v[16:17], v1 offset1:81
	ds_load_2addr_b32 v[36:37], v46 offset0:42 offset1:123
	ds_load_2addr_b32 v[34:35], v47 offset0:84 offset1:165
	;; [unrolled: 1-line block ×14, first 2 shown]
	global_wb scope:SCOPE_SE
	s_wait_dscnt 0x0
	s_barrier_signal -1
	s_barrier_wait -1
	global_inv scope:SCOPE_SE
	ds_store_2addr_b32 v121, v5, v108 offset1:30
	ds_store_b32 v121, v4 offset:240
	ds_store_2addr_b32 v40, v6, v96 offset1:30
	v_add_f32_e32 v4, v105, v103
	v_add_f32_e32 v5, v106, v107
	v_fmac_f32_e32 v110, 0xbf5db3d7, v7
	v_dual_add_f32 v6, v111, v105 :: v_dual_sub_f32 v7, v98, v102
	s_delay_alu instid0(VALU_DEP_4) | instskip(SKIP_2) | instid1(VALU_DEP_4)
	v_fma_f32 v4, -0.5, v4, v111
	v_add_f32_e32 v96, v112, v106
	v_dual_fmac_f32 v112, -0.5, v5 :: v_dual_sub_f32 v5, v100, v104
	v_add_f32_e32 v6, v6, v103
	s_delay_alu instid0(VALU_DEP_4) | instskip(SKIP_1) | instid1(VALU_DEP_4)
	v_fmamk_f32 v98, v7, 0x3f5db3d7, v4
	v_fmac_f32_e32 v4, 0xbf5db3d7, v7
	v_dual_add_f32 v7, v96, v107 :: v_dual_fmamk_f32 v96, v5, 0x3f5db3d7, v112
	ds_store_b32 v40, v110 offset:240
	v_fmac_f32_e32 v112, 0xbf5db3d7, v5
	ds_store_2addr_b32 v43, v6, v98 offset1:30
	ds_store_b32 v43, v4 offset:240
	ds_store_2addr_b32 v42, v7, v96 offset1:30
	v_dual_add_f32 v4, v97, v90 :: v_dual_add_f32 v5, v99, v101
	v_sub_f32_e32 v7, v85, v91
	v_add_f32_e32 v40, v114, v99
	ds_store_b32 v42, v112 offset:240
	v_fma_f32 v4, -0.5, v4, v113
	v_dual_fmac_f32 v114, -0.5, v5 :: v_dual_sub_f32 v5, v86, v92
	v_add_f32_e32 v43, v93, v88
	v_add_f32_e32 v85, v115, v93
	s_delay_alu instid0(VALU_DEP_4)
	v_fmamk_f32 v42, v7, 0x3f5db3d7, v4
	v_dual_fmac_f32 v4, 0xbf5db3d7, v7 :: v_dual_add_f32 v7, v40, v101
	v_fmamk_f32 v40, v5, 0x3f5db3d7, v114
	v_dual_fmac_f32 v114, 0xbf5db3d7, v5 :: v_dual_add_f32 v5, v95, v94
	v_fma_f32 v43, -0.5, v43, v115
	v_add_f32_e32 v86, v116, v95
	v_dual_add_f32 v6, v113, v97 :: v_dual_add_f32 v87, v118, v119
	s_delay_alu instid0(VALU_DEP_4)
	v_fmac_f32_e32 v116, -0.5, v5
	v_sub_f32_e32 v5, v83, v89
	v_add_f32_e32 v83, v85, v88
	v_fmamk_f32 v85, v82, 0x3f5db3d7, v43
	v_fmac_f32_e32 v43, 0xbf5db3d7, v82
	v_add_f32_e32 v82, v86, v94
	v_fmamk_f32 v86, v5, 0x3f5db3d7, v116
	v_dual_fmac_f32 v116, 0xbf5db3d7, v5 :: v_dual_add_f32 v5, v119, v38
	v_add_f32_e32 v6, v6, v90
	ds_store_2addr_b32 v39, v6, v42 offset1:30
	ds_store_b32 v39, v4 offset:240
	ds_store_2addr_b32 v41, v7, v40 offset1:30
	ds_store_b32 v41, v114 offset:240
	v_dual_fmac_f32 v118, -0.5, v5 :: v_dual_sub_f32 v5, v78, v120
	v_dual_add_f32 v78, v79, v84 :: v_dual_fmamk_f32 v79, v77, 0x3f5db3d7, v81
	v_dual_fmac_f32 v81, 0xbf5db3d7, v77 :: v_dual_lshlrev_b32 v4, 1, v0
	s_delay_alu instid0(VALU_DEP_3)
	v_fmamk_f32 v77, v5, 0x3f5db3d7, v118
	v_dual_fmac_f32 v118, 0xbf5db3d7, v5 :: v_dual_mov_b32 v5, 0
	v_add_f32_e32 v38, v87, v38
	ds_store_2addr_b32 v75, v83, v85 offset1:30
	ds_store_b32 v75, v43 offset:240
	ds_store_2addr_b32 v74, v82, v86 offset1:30
	ds_store_b32 v74, v116 offset:240
	;; [unrolled: 2-line block ×4, first 2 shown]
	v_lshlrev_b64_e32 v[6:7], 3, v[4:5]
	v_add_nc_u32_e32 v38, -9, v0
	v_mul_lo_u16 v39, 0xb7, v70
	v_mul_u32_u24_e32 v40, 0x2d83, v73
	global_wb scope:SCOPE_SE
	s_wait_dscnt 0x0
	s_barrier_signal -1
	v_add_co_u32 v6, s0, s4, v6
	s_wait_alu 0xf1ff
	v_add_co_ci_u32_e64 v7, s0, s5, v7, s0
	v_cmp_gt_u32_e64 s0, 9, v0
	v_lshrrev_b16 v41, 14, v39
	v_mov_b32_e32 v39, v5
	v_lshrrev_b32_e32 v40, 20, v40
	s_barrier_wait -1
	s_wait_alu 0xf1ff
	v_cndmask_b32_e64 v42, v38, v65, s0
	v_mul_lo_u16 v43, 0x5a, v41
	global_inv scope:SCOPE_SE
	global_load_b128 v[77:80], v[6:7], off offset:640
	v_lshlrev_b32_e32 v38, 1, v42
	v_sub_nc_u16 v70, v64, v43
	v_mul_lo_u16 v43, 0x5a, v40
	s_delay_alu instid0(VALU_DEP_3) | instskip(NEXT) | instid1(VALU_DEP_3)
	v_lshlrev_b64_e32 v[38:39], 3, v[38:39]
	v_and_b32_e32 v73, 0xff, v70
	s_delay_alu instid0(VALU_DEP_3) | instskip(SKIP_1) | instid1(VALU_DEP_4)
	v_sub_nc_u16 v74, v45, v43
	v_lshrrev_b32_e32 v43, 20, v72
	v_add_co_u32 v38, s0, s4, v38
	s_wait_alu 0xf1ff
	v_add_co_ci_u32_e64 v39, s0, s5, v39, s0
	v_and_b32_e32 v72, 0xffff, v74
	v_cmp_lt_u32_e64 s0, 8, v0
	global_load_b128 v[81:84], v[38:39], off offset:640
	v_mul_u32_u24_e32 v38, 0x2d83, v71
	v_mul_lo_u16 v39, 0x5a, v43
	v_lshlrev_b32_e32 v71, 4, v73
	v_lshlrev_b32_e32 v74, 4, v72
	s_delay_alu instid0(VALU_DEP_4) | instskip(NEXT) | instid1(VALU_DEP_4)
	v_lshrrev_b32_e32 v70, 20, v38
	v_sub_nc_u16 v38, v57, v39
	s_clause 0x1
	global_load_b128 v[85:88], v71, s[4:5] offset:640
	global_load_b128 v[89:92], v74, s[4:5] offset:640
	v_mul_lo_u16 v39, 0x5a, v70
	v_and_b32_e32 v71, 0xffff, v38
	v_mul_u32_u24_e32 v38, 0x2d83, v67
	s_delay_alu instid0(VALU_DEP_3) | instskip(NEXT) | instid1(VALU_DEP_3)
	v_sub_nc_u16 v39, v44, v39
	v_lshlrev_b32_e32 v76, 4, v71
	s_delay_alu instid0(VALU_DEP_3)
	v_lshrrev_b32_e32 v74, 20, v38
	v_mul_u32_u24_e32 v38, 0x2d83, v66
	v_mul_u32_u24_e32 v66, 0x795d, v66
	v_and_b32_e32 v75, 0xffff, v39
	global_load_b128 v[93:96], v76, s[4:5] offset:640
	v_mul_lo_u16 v39, 0x5a, v74
	v_lshrrev_b32_e32 v66, 23, v66
	v_lshlrev_b32_e32 v97, 4, v75
	global_load_b128 v[97:100], v97, s[4:5] offset:640
	v_lshrrev_b32_e32 v76, 20, v38
	v_sub_nc_u16 v38, v56, v39
	v_mul_u32_u24_e32 v39, 0x2d83, v68
	s_delay_alu instid0(VALU_DEP_3) | instskip(NEXT) | instid1(VALU_DEP_3)
	v_mul_lo_u16 v101, 0x5a, v76
	v_and_b32_e32 v123, 0xffff, v38
	s_delay_alu instid0(VALU_DEP_3) | instskip(SKIP_1) | instid1(VALU_DEP_4)
	v_lshrrev_b32_e32 v124, 20, v39
	v_mul_u32_u24_e32 v38, 0x2d83, v69
	v_sub_nc_u16 v39, v63, v101
	s_delay_alu instid0(VALU_DEP_4) | instskip(NEXT) | instid1(VALU_DEP_4)
	v_lshlrev_b32_e32 v101, 4, v123
	v_mul_lo_u16 v105, 0x5a, v124
	s_delay_alu instid0(VALU_DEP_4) | instskip(NEXT) | instid1(VALU_DEP_4)
	v_lshrrev_b32_e32 v38, 20, v38
	v_and_b32_e32 v125, 0xffff, v39
	global_load_b128 v[101:104], v101, s[4:5] offset:640
	v_sub_nc_u16 v39, v58, v105
	v_mul_lo_u16 v38, 0x5a, v38
	v_lshlrev_b32_e32 v105, 4, v125
	s_delay_alu instid0(VALU_DEP_3) | instskip(NEXT) | instid1(VALU_DEP_3)
	v_and_b32_e32 v126, 0xffff, v39
	v_sub_nc_u16 v38, v59, v38
	global_load_b128 v[105:108], v105, s[4:5] offset:640
	v_lshlrev_b32_e32 v39, 4, v126
	v_and_b32_e32 v127, 0xffff, v38
	global_load_b128 v[109:112], v39, s[4:5] offset:640
	v_lshlrev_b32_e32 v38, 4, v127
	global_load_b128 v[113:116], v38, s[4:5] offset:640
	ds_load_2addr_b32 v[38:39], v46 offset0:42 offset1:123
	ds_load_2addr_b32 v[117:118], v47 offset0:84 offset1:165
	;; [unrolled: 1-line block ×4, first 2 shown]
	s_wait_loadcnt_dscnt 0x902
	v_mul_f32_e32 v129, v117, v80
	v_mul_f32_e32 v80, v34, v80
	;; [unrolled: 1-line block ×3, first 2 shown]
	s_delay_alu instid0(VALU_DEP_3) | instskip(NEXT) | instid1(VALU_DEP_3)
	v_dual_mul_f32 v78, v36, v78 :: v_dual_fmac_f32 v129, v34, v79
	v_fma_f32 v117, v117, v79, -v80
	s_delay_alu instid0(VALU_DEP_3) | instskip(NEXT) | instid1(VALU_DEP_3)
	v_fmac_f32_e32 v128, v36, v77
	v_fma_f32 v36, v38, v77, -v78
	ds_load_2addr_b32 v[77:78], v51 offset0:110 offset1:191
	s_wait_loadcnt 0x8
	v_mul_f32_e32 v130, v39, v82
	v_dual_mul_f32 v34, v37, v82 :: v_dual_mul_f32 v131, v118, v84
	s_delay_alu instid0(VALU_DEP_2) | instskip(NEXT) | instid1(VALU_DEP_2)
	v_fmac_f32_e32 v130, v37, v81
	v_fma_f32 v132, v39, v81, -v34
	s_delay_alu instid0(VALU_DEP_3)
	v_fmac_f32_e32 v131, v35, v83
	s_wait_loadcnt_dscnt 0x702
	v_mul_f32_e32 v133, v119, v86
	v_mul_f32_e32 v37, v32, v86
	s_wait_loadcnt_dscnt 0x601
	v_dual_mul_f32 v135, v120, v90 :: v_dual_mul_f32 v136, v122, v92
	s_delay_alu instid0(VALU_DEP_3) | instskip(NEXT) | instid1(VALU_DEP_2)
	v_dual_fmac_f32 v133, v32, v85 :: v_dual_mul_f32 v32, v33, v90
	v_fmac_f32_e32 v135, v33, v89
	v_fma_f32 v119, v119, v85, -v37
	v_mul_f32_e32 v37, v31, v92
	v_fmac_f32_e32 v136, v31, v91
	v_fma_f32 v120, v120, v89, -v32
	ds_load_2addr_b32 v[32:33], v54 offset0:16 offset1:97
	s_wait_loadcnt_dscnt 0x501
	v_mul_f32_e32 v81, v77, v94
	v_fma_f32 v122, v122, v91, -v37
	v_mul_f32_e32 v37, v28, v94
	s_delay_alu instid0(VALU_DEP_3) | instskip(SKIP_2) | instid1(VALU_DEP_1)
	v_dual_fmac_f32 v81, v28, v93 :: v_dual_mul_f32 v28, v26, v96
	s_wait_loadcnt_dscnt 0x300
	v_mul_f32_e32 v82, v32, v102
	v_fmac_f32_e32 v82, v24, v101
	v_mul_f32_e32 v38, v35, v84
	ds_load_2addr_b32 v[34:35], v52 offset0:152 offset1:233
	v_mul_f32_e32 v84, v78, v98
	v_fma_f32 v118, v118, v83, -v38
	s_wait_loadcnt 0x2
	v_dual_mul_f32 v83, v33, v106 :: v_dual_mul_f32 v38, v30, v88
	s_delay_alu instid0(VALU_DEP_3) | instskip(NEXT) | instid1(VALU_DEP_2)
	v_fmac_f32_e32 v84, v29, v97
	v_fmac_f32_e32 v83, v25, v105
	v_mul_f32_e32 v134, v121, v88
	s_delay_alu instid0(VALU_DEP_4) | instskip(NEXT) | instid1(VALU_DEP_2)
	v_fma_f32 v121, v121, v87, -v38
	v_fmac_f32_e32 v134, v30, v87
	ds_load_2addr_b32 v[30:31], v55 offset0:58 offset1:139
	s_wait_dscnt 0x1
	v_mul_f32_e32 v94, v34, v96
	v_fma_f32 v96, v77, v93, -v37
	v_dual_mul_f32 v37, v29, v98 :: v_dual_mul_f32 v98, v35, v100
	s_delay_alu instid0(VALU_DEP_3)
	v_fmac_f32_e32 v94, v26, v95
	v_fma_f32 v95, v34, v95, -v28
	ds_load_2addr_b32 v[28:29], v61 offset0:50 offset1:131
	v_fmac_f32_e32 v98, v27, v99
	v_mul_f32_e32 v34, v27, v100
	ds_load_2addr_b32 v[26:27], v62 offset0:92 offset1:173
	v_fma_f32 v97, v78, v97, -v37
	v_mul_f32_e32 v37, v24, v102
	ds_load_2addr_b32 v[86:87], v1 offset1:81
	ds_load_2addr_b32 v[88:89], v1 offset0:162 offset1:243
	ds_load_2addr_b32 v[90:91], v50 offset0:68 offset1:149
	;; [unrolled: 1-line block ×4, first 2 shown]
	v_fma_f32 v99, v35, v99, -v34
	v_mul_f32_e32 v34, v22, v104
	v_mul_f32_e32 v24, v23, v108
	s_wait_dscnt 0x7
	v_mul_f32_e32 v85, v30, v104
	v_fma_f32 v100, v32, v101, -v37
	v_mul_f32_e32 v101, v31, v108
	v_fma_f32 v102, v30, v103, -v34
	v_fma_f32 v104, v31, v107, -v24
	v_dual_fmac_f32 v85, v22, v103 :: v_dual_mul_f32 v22, v25, v106
	s_delay_alu instid0(VALU_DEP_4)
	v_fmac_f32_e32 v101, v23, v107
	s_wait_loadcnt 0x1
	v_mul_f32_e32 v23, v18, v112
	global_wb scope:SCOPE_SE
	s_wait_loadcnt_dscnt 0x0
	v_mul_f32_e32 v78, v28, v110
	v_fma_f32 v103, v33, v105, -v22
	v_mul_f32_e32 v22, v20, v110
	v_dual_mul_f32 v80, v26, v112 :: v_dual_mul_f32 v77, v29, v114
	v_mul_f32_e32 v106, v27, v116
	v_fmac_f32_e32 v78, v20, v109
	s_delay_alu instid0(VALU_DEP_4)
	v_fma_f32 v105, v28, v109, -v22
	v_add_f32_e32 v22, v128, v129
	v_mul_f32_e32 v20, v19, v116
	v_fmac_f32_e32 v80, v18, v111
	v_mul_f32_e32 v18, v21, v114
	v_fmac_f32_e32 v77, v21, v113
	v_dual_add_f32 v21, v16, v128 :: v_dual_fmac_f32 v106, v19, v115
	v_fma_f32 v16, -0.5, v22, v16
	v_sub_f32_e32 v19, v36, v117
	v_fma_f32 v108, v27, v115, -v20
	v_add_f32_e32 v20, v130, v131
	v_fma_f32 v107, v29, v113, -v18
	v_add_f32_e32 v18, v21, v129
	v_fmamk_f32 v24, v19, 0xbf5db3d7, v16
	v_fma_f32 v79, v26, v111, -v23
	v_add_f32_e32 v21, v17, v130
	v_lshlrev_b32_e32 v22, 2, v42
	s_wait_alu 0xf1ff
	v_cndmask_b32_e64 v23, 0, 0x438, s0
	v_dual_fmac_f32 v17, -0.5, v20 :: v_dual_sub_f32 v20, v132, v118
	s_barrier_signal -1
	s_barrier_wait -1
	v_fmac_f32_e32 v16, 0x3f5db3d7, v19
	global_inv scope:SCOPE_SE
	ds_store_2addr_b32 v1, v18, v24 offset1:90
	v_and_b32_e32 v18, 0xffff, v41
	v_add3_u32 v42, 0, v23, v22
	v_add_f32_e32 v19, v21, v131
	v_fmamk_f32 v21, v20, 0xbf5db3d7, v17
	ds_store_b32 v1, v16 offset:720
	ds_store_2addr_b32 v42, v19, v21 offset1:90
	v_add_f32_e32 v16, v133, v134
	v_mul_u32_u24_e32 v18, 0x438, v18
	v_lshlrev_b32_e32 v19, 2, v73
	v_dual_fmac_f32 v17, 0x3f5db3d7, v20 :: v_dual_add_f32 v20, v14, v133
	s_delay_alu instid0(VALU_DEP_4) | instskip(SKIP_1) | instid1(VALU_DEP_4)
	v_fma_f32 v14, -0.5, v16, v14
	v_sub_f32_e32 v16, v119, v121
	v_add3_u32 v73, 0, v18, v19
	v_add_f32_e32 v18, v135, v136
	ds_store_b32 v42, v17 offset:720
	v_add_f32_e32 v17, v20, v134
	v_dual_fmamk_f32 v19, v16, 0xbf5db3d7, v14 :: v_dual_add_f32 v20, v15, v135
	v_fmac_f32_e32 v15, -0.5, v18
	v_sub_f32_e32 v18, v120, v122
	v_mul_u32_u24_e32 v21, 0x438, v40
	ds_store_2addr_b32 v73, v17, v19 offset1:90
	v_dual_fmac_f32 v14, 0x3f5db3d7, v16 :: v_dual_lshlrev_b32 v19, 2, v71
	v_fmamk_f32 v17, v18, 0xbf5db3d7, v15
	v_fmac_f32_e32 v15, 0x3f5db3d7, v18
	v_mul_u32_u24_e32 v18, 0x438, v43
	v_add_f32_e32 v16, v20, v136
	ds_store_b32 v73, v14 offset:720
	v_add_f32_e32 v14, v81, v94
	v_add_f32_e32 v20, v12, v81
	v_add3_u32 v43, 0, v18, v19
	v_add_f32_e32 v19, v13, v84
	v_lshlrev_b32_e32 v22, 2, v72
	v_lshlrev_b32_e32 v18, 2, v75
	v_fma_f32 v12, -0.5, v14, v12
	v_sub_f32_e32 v14, v96, v95
	v_cmp_gt_u32_e64 s0, 27, v0
	v_add3_u32 v72, 0, v21, v22
	ds_store_2addr_b32 v72, v16, v17 offset1:90
	ds_store_b32 v72, v15 offset:720
	v_mul_u32_u24_e32 v17, 0x438, v70
	v_dual_add_f32 v15, v20, v94 :: v_dual_fmamk_f32 v16, v14, 0xbf5db3d7, v12
	v_fmac_f32_e32 v12, 0x3f5db3d7, v14
	v_lshlrev_b32_e32 v20, 2, v125
	s_delay_alu instid0(VALU_DEP_4)
	v_add3_u32 v70, 0, v17, v18
	v_add_f32_e32 v18, v82, v85
	v_add_f32_e32 v17, v10, v82
	ds_store_2addr_b32 v43, v15, v16 offset1:90
	v_mul_u32_u24_e32 v15, 0x438, v74
	v_lshlrev_b32_e32 v16, 2, v123
	v_fma_f32 v10, -0.5, v18, v10
	v_mul_u32_u24_e32 v18, 0x438, v76
	v_lshl_add_u32 v76, v127, 2, 0
	ds_store_b32 v43, v12 offset:720
	v_add3_u32 v71, 0, v15, v16
	v_dual_add_f32 v15, v83, v101 :: v_dual_sub_f32 v16, v100, v102
	v_dual_add_f32 v14, v84, v98 :: v_dual_add_nc_u32 v109, 0x2000, v76
	v_add_f32_e32 v12, v19, v98
	v_add3_u32 v74, 0, v18, v20
	s_delay_alu instid0(VALU_DEP_4) | instskip(NEXT) | instid1(VALU_DEP_4)
	v_fmamk_f32 v21, v16, 0xbf5db3d7, v10
	v_dual_fmac_f32 v10, 0x3f5db3d7, v16 :: v_dual_fmac_f32 v13, -0.5, v14
	v_sub_f32_e32 v14, v97, v99
	s_delay_alu instid0(VALU_DEP_1) | instskip(SKIP_3) | instid1(VALU_DEP_2)
	v_fmamk_f32 v19, v14, 0xbf5db3d7, v13
	v_dual_fmac_f32 v13, 0x3f5db3d7, v14 :: v_dual_add_f32 v14, v17, v85
	v_add_f32_e32 v17, v11, v83
	v_fmac_f32_e32 v11, -0.5, v15
	v_dual_sub_f32 v15, v103, v104 :: v_dual_add_f32 v16, v17, v101
	s_delay_alu instid0(VALU_DEP_1)
	v_fmamk_f32 v17, v15, 0xbf5db3d7, v11
	ds_store_2addr_b32 v70, v12, v19 offset1:90
	ds_store_b32 v70, v13 offset:720
	ds_store_2addr_b32 v71, v14, v21 offset1:90
	ds_store_b32 v71, v10 offset:720
	ds_store_2addr_b32 v74, v16, v17 offset1:90
	v_dual_add_f32 v10, v78, v80 :: v_dual_fmac_f32 v11, 0x3f5db3d7, v15
	v_mul_u32_u24_e32 v12, 0x438, v124
	v_lshlrev_b32_e32 v13, 2, v126
	v_add_f32_e32 v14, v8, v78
	s_delay_alu instid0(VALU_DEP_4)
	v_fma_f32 v8, -0.5, v10, v8
	v_sub_f32_e32 v10, v105, v79
	ds_store_b32 v74, v11 offset:720
	v_add_f32_e32 v11, v77, v106
	v_add3_u32 v75, 0, v12, v13
	v_add_f32_e32 v12, v14, v80
	v_dual_fmamk_f32 v13, v10, 0xbf5db3d7, v8 :: v_dual_add_f32 v14, v9, v77
	s_delay_alu instid0(VALU_DEP_4)
	v_fmac_f32_e32 v9, -0.5, v11
	v_dual_sub_f32 v11, v107, v108 :: v_dual_fmac_f32 v8, 0x3f5db3d7, v10
	ds_store_2addr_b32 v75, v12, v13 offset1:90
	v_add_f32_e32 v10, v14, v106
	v_fmamk_f32 v12, v11, 0xbf5db3d7, v9
	v_fmac_f32_e32 v9, 0x3f5db3d7, v11
	v_add_f32_e32 v11, v86, v36
	ds_store_b32 v75, v8 offset:720
	v_add_f32_e32 v8, v36, v117
	ds_store_2addr_b32 v109, v10, v12 offset0:112 offset1:202
	ds_store_b32 v76, v9 offset:9360
	v_sub_f32_e32 v10, v128, v129
	v_add_f32_e32 v9, v11, v117
	v_add_f32_e32 v11, v132, v118
	v_fma_f32 v8, -0.5, v8, v86
	global_wb scope:SCOPE_SE
	s_wait_dscnt 0x0
	s_barrier_signal -1
	s_barrier_wait -1
	global_inv scope:SCOPE_SE
	ds_load_2addr_b32 v[20:21], v1 offset1:81
	ds_load_2addr_b32 v[40:41], v46 offset0:42 offset1:123
	ds_load_2addr_b32 v[111:112], v47 offset0:84 offset1:165
	;; [unrolled: 1-line block ×12, first 2 shown]
	v_dual_add_f32 v86, v87, v132 :: v_dual_fmac_f32 v87, -0.5, v11
	v_sub_f32_e32 v11, v130, v131
	v_fmamk_f32 v110, v10, 0x3f5db3d7, v8
	v_fmac_f32_e32 v8, 0xbf5db3d7, v10
	s_delay_alu instid0(VALU_DEP_4)
	v_add_f32_e32 v10, v86, v118
	ds_load_2addr_b32 v[24:25], v61 offset0:50 offset1:131
	ds_load_2addr_b32 v[22:23], v62 offset0:92 offset1:173
	v_fmamk_f32 v86, v11, 0x3f5db3d7, v87
	global_wb scope:SCOPE_SE
	s_wait_dscnt 0x0
	s_barrier_signal -1
	s_barrier_wait -1
	global_inv scope:SCOPE_SE
	ds_store_2addr_b32 v1, v9, v110 offset1:90
	ds_store_b32 v1, v8 offset:720
	ds_store_2addr_b32 v42, v10, v86 offset1:90
	v_dual_add_f32 v8, v119, v121 :: v_dual_add_f32 v9, v120, v122
	v_fmac_f32_e32 v87, 0xbf5db3d7, v11
	v_dual_add_f32 v10, v88, v119 :: v_dual_sub_f32 v11, v133, v134
	s_delay_alu instid0(VALU_DEP_3) | instskip(NEXT) | instid1(VALU_DEP_4)
	v_fma_f32 v8, -0.5, v8, v88
	v_dual_add_f32 v86, v89, v120 :: v_dual_fmac_f32 v89, -0.5, v9
	s_delay_alu instid0(VALU_DEP_3) | instskip(NEXT) | instid1(VALU_DEP_3)
	v_dual_sub_f32 v9, v135, v136 :: v_dual_add_f32 v10, v10, v121
	v_fmamk_f32 v88, v11, 0x3f5db3d7, v8
	s_delay_alu instid0(VALU_DEP_3) | instskip(NEXT) | instid1(VALU_DEP_3)
	v_dual_fmac_f32 v8, 0xbf5db3d7, v11 :: v_dual_add_f32 v11, v86, v122
	v_fmamk_f32 v86, v9, 0x3f5db3d7, v89
	ds_store_b32 v42, v87 offset:720
	v_fmac_f32_e32 v89, 0xbf5db3d7, v9
	ds_store_2addr_b32 v73, v10, v88 offset1:90
	ds_store_b32 v73, v8 offset:720
	ds_store_2addr_b32 v72, v11, v86 offset1:90
	v_add_f32_e32 v8, v96, v95
	v_add_f32_e32 v9, v97, v99
	v_dual_sub_f32 v11, v81, v94 :: v_dual_add_f32 v42, v91, v97
	ds_store_b32 v72, v89 offset:720
	v_fma_f32 v8, -0.5, v8, v90
	v_fmac_f32_e32 v91, -0.5, v9
	v_sub_f32_e32 v9, v84, v98
	v_dual_add_f32 v73, v100, v102 :: v_dual_sub_f32 v82, v82, v85
	s_delay_alu instid0(VALU_DEP_4) | instskip(SKIP_1) | instid1(VALU_DEP_4)
	v_fmamk_f32 v72, v11, 0x3f5db3d7, v8
	v_fmac_f32_e32 v8, 0xbf5db3d7, v11
	v_dual_add_f32 v11, v42, v99 :: v_dual_fmamk_f32 v42, v9, 0x3f5db3d7, v91
	v_fmac_f32_e32 v91, 0xbf5db3d7, v9
	v_add_f32_e32 v9, v103, v104
	v_fma_f32 v73, -0.5, v73, v92
	v_add_f32_e32 v84, v93, v103
	v_dual_add_f32 v10, v90, v96 :: v_dual_add_f32 v85, v105, v79
	s_delay_alu instid0(VALU_DEP_4) | instskip(SKIP_3) | instid1(VALU_DEP_3)
	v_fmac_f32_e32 v93, -0.5, v9
	v_sub_f32_e32 v9, v83, v101
	v_fmamk_f32 v83, v82, 0x3f5db3d7, v73
	v_dual_fmac_f32 v73, 0xbf5db3d7, v82 :: v_dual_add_f32 v82, v84, v104
	v_dual_add_f32 v81, v92, v100 :: v_dual_fmamk_f32 v84, v9, 0x3f5db3d7, v93
	v_fmac_f32_e32 v93, 0xbf5db3d7, v9
	v_dual_add_f32 v9, v107, v108 :: v_dual_add_f32 v10, v10, v95
	v_add_f32_e32 v86, v38, v105
	v_sub_f32_e32 v78, v78, v80
	v_fma_f32 v38, -0.5, v85, v38
	s_delay_alu instid0(VALU_DEP_4)
	v_dual_add_f32 v80, v39, v107 :: v_dual_fmac_f32 v39, -0.5, v9
	v_sub_f32_e32 v9, v77, v106
	v_add_f32_e32 v81, v81, v102
	v_add_f32_e32 v77, v86, v79
	v_fmamk_f32 v79, v78, 0x3f5db3d7, v38
	v_fmac_f32_e32 v38, 0xbf5db3d7, v78
	v_add_f32_e32 v78, v80, v108
	v_fmamk_f32 v80, v9, 0x3f5db3d7, v39
	v_fmac_f32_e32 v39, 0xbf5db3d7, v9
	ds_store_2addr_b32 v43, v10, v72 offset1:90
	ds_store_b32 v43, v8 offset:720
	ds_store_2addr_b32 v70, v11, v42 offset1:90
	ds_store_b32 v70, v91 offset:720
	;; [unrolled: 2-line block ×5, first 2 shown]
	ds_store_2addr_b32 v109, v78, v80 offset0:112 offset1:202
	ds_store_b32 v76, v39 offset:9360
	v_dual_mov_b32 v9, v5 :: v_dual_lshlrev_b32 v8, 1, v65
	v_subrev_nc_u32_e32 v10, 27, v0
	v_dual_mov_b32 v43, v5 :: v_dual_lshlrev_b32 v42, 1, v64
	global_wb scope:SCOPE_SE
	s_wait_dscnt 0x0
	v_lshlrev_b64_e32 v[8:9], 3, v[8:9]
	s_wait_alu 0xf1ff
	v_cndmask_b32_e64 v38, v10, v45, s0
	s_barrier_signal -1
	v_lshlrev_b64_e32 v[42:43], 3, v[42:43]
	s_barrier_wait -1
	global_inv scope:SCOPE_SE
	v_add_co_u32 v10, s0, s4, v8
	s_wait_alu 0xf1ff
	v_add_co_ci_u32_e64 v11, s0, s5, v9, s0
	v_dual_mov_b32 v9, v5 :: v_dual_lshlrev_b32 v8, 1, v38
	s_clause 0x1
	global_load_b128 v[70:73], v[6:7], off offset:2080
	global_load_b128 v[75:78], v[10:11], off offset:2080
	v_mul_u32_u24_e32 v39, 0x795d, v67
	v_lshlrev_b64_e32 v[64:65], 3, v[8:9]
	v_add_co_u32 v8, s0, s4, v42
	s_wait_alu 0xf1ff
	v_add_co_ci_u32_e64 v9, s0, s5, v43, s0
	v_add_nc_u32_e32 v42, 0x6c, v4
	s_delay_alu instid0(VALU_DEP_4)
	v_add_co_u32 v64, s0, s4, v64
	s_wait_alu 0xf1ff
	v_add_co_ci_u32_e64 v65, s0, s5, v65, s0
	global_load_b128 v[79:82], v[8:9], off offset:2080
	v_mov_b32_e32 v43, v5
	v_lshrrev_b32_e32 v39, 23, v39
	global_load_b128 v[83:86], v[64:65], off offset:2080
	v_add_nc_u32_e32 v4, 0x10e, v4
	v_lshlrev_b64_e32 v[42:43], 3, v[42:43]
	v_mul_lo_u16 v67, 0x10e, v39
	s_delay_alu instid0(VALU_DEP_3) | instskip(NEXT) | instid1(VALU_DEP_3)
	v_lshlrev_b64_e32 v[64:65], 3, v[4:5]
	v_add_co_u32 v42, s0, s4, v42
	s_wait_alu 0xf1ff
	s_delay_alu instid0(VALU_DEP_4)
	v_add_co_ci_u32_e64 v43, s0, s5, v43, s0
	v_sub_nc_u16 v4, v56, v67
	v_mul_u32_u24_e32 v67, 0x795d, v68
	global_load_b128 v[87:90], v[42:43], off offset:2080
	v_add_co_u32 v42, s0, s4, v64
	s_wait_alu 0xf1ff
	v_add_co_ci_u32_e64 v43, s0, s5, v65, s0
	v_mul_lo_u16 v64, 0x10e, v66
	v_lshrrev_b32_e32 v65, 23, v67
	v_and_b32_e32 v115, 0xffff, v4
	global_load_b128 v[91:94], v[42:43], off offset:2080
	v_mul_u32_u24_e32 v4, 0x795d, v69
	v_sub_nc_u16 v42, v63, v64
	v_mul_lo_u16 v43, 0x10e, v65
	v_lshlrev_b32_e32 v64, 4, v115
	v_cmp_lt_u32_e64 s0, 26, v0
	v_lshrrev_b32_e32 v4, 23, v4
	v_and_b32_e32 v116, 0xffff, v42
	v_sub_nc_u16 v42, v58, v43
	global_load_b128 v[95:98], v64, s[4:5] offset:2080
	v_mul_lo_u16 v4, 0x10e, v4
	v_lshlrev_b32_e32 v43, 4, v116
	v_and_b32_e32 v117, 0xffff, v42
	s_delay_alu instid0(VALU_DEP_3)
	v_sub_nc_u16 v4, v59, v4
	global_load_b128 v[99:102], v43, s[4:5] offset:2080
	v_lshlrev_b32_e32 v42, 4, v117
	v_and_b32_e32 v118, 0xffff, v4
	global_load_b128 v[103:106], v42, s[4:5] offset:2080
	v_lshlrev_b32_e32 v4, 4, v118
	global_load_b128 v[107:110], v4, s[4:5] offset:2080
	ds_load_2addr_b32 v[42:43], v46 offset0:42 offset1:123
	ds_load_2addr_b32 v[64:65], v47 offset0:84 offset1:165
	ds_load_2addr_b32 v[66:67], v48 offset0:76 offset1:157
	ds_load_2addr_b32 v[113:114], v49 offset0:118 offset1:199
	s_wait_loadcnt 0x9
	v_mul_f32_e32 v68, v111, v73
	s_wait_loadcnt_dscnt 0x803
	v_mul_f32_e32 v69, v43, v76
	s_wait_dscnt 0x2
	v_dual_mul_f32 v119, v42, v71 :: v_dual_mul_f32 v120, v64, v73
	s_delay_alu instid0(VALU_DEP_2) | instskip(SKIP_1) | instid1(VALU_DEP_3)
	v_fmac_f32_e32 v69, v41, v75
	v_mul_f32_e32 v4, v40, v71
	v_dual_fmac_f32 v119, v40, v70 :: v_dual_fmac_f32 v120, v111, v72
	s_delay_alu instid0(VALU_DEP_2) | instskip(SKIP_4) | instid1(VALU_DEP_2)
	v_fma_f32 v42, v42, v70, -v4
	v_fma_f32 v4, v64, v72, -v68
	s_wait_loadcnt_dscnt 0x701
	v_mul_f32_e32 v68, v66, v80
	v_dual_mul_f32 v70, v36, v80 :: v_dual_mul_f32 v71, v34, v82
	v_fmac_f32_e32 v68, v36, v79
	s_wait_loadcnt 0x6
	v_mul_f32_e32 v36, v37, v84
	s_delay_alu instid0(VALU_DEP_3) | instskip(NEXT) | instid1(VALU_DEP_2)
	v_fma_f32 v122, v66, v79, -v70
	v_fma_f32 v73, v67, v83, -v36
	v_mul_f32_e32 v40, v41, v76
	s_delay_alu instid0(VALU_DEP_1)
	v_fma_f32 v121, v43, v75, -v40
	v_mul_f32_e32 v43, v112, v78
	ds_load_2addr_b32 v[40:41], v51 offset0:110 offset1:191
	s_wait_loadcnt 0x5
	v_mul_f32_e32 v70, v32, v88
	v_fma_f32 v64, v65, v77, -v43
	v_mul_f32_e32 v43, v67, v84
	v_mul_f32_e32 v67, v35, v86
	s_delay_alu instid0(VALU_DEP_2)
	v_fmac_f32_e32 v43, v37, v83
	v_mul_f32_e32 v76, v65, v78
	s_wait_dscnt 0x1
	v_mul_f32_e32 v65, v114, v86
	v_fma_f32 v114, v114, v85, -v67
	ds_load_2addr_b32 v[36:37], v54 offset0:16 offset1:97
	v_dual_mul_f32 v67, v30, v90 :: v_dual_fmac_f32 v76, v112, v77
	ds_load_2addr_b32 v[111:112], v52 offset0:152 offset1:233
	v_fmac_f32_e32 v65, v35, v85
	ds_load_2addr_b32 v[85:86], v61 offset0:50 offset1:131
	s_wait_dscnt 0x3
	v_fma_f32 v83, v40, v87, -v70
	s_wait_loadcnt_dscnt 0x302
	v_mul_f32_e32 v70, v36, v96
	s_wait_dscnt 0x1
	v_mul_f32_e32 v74, v111, v90
	v_fma_f32 v75, v111, v89, -v67
	s_wait_loadcnt_dscnt 0x100
	v_mul_f32_e32 v67, v85, v104
	s_wait_loadcnt 0x0
	v_dual_mul_f32 v79, v112, v94 :: v_dual_mul_f32 v72, v86, v108
	v_fmac_f32_e32 v74, v30, v89
	v_fmac_f32_e32 v70, v28, v95
	v_dual_fmac_f32 v67, v24, v103 :: v_dual_mul_f32 v30, v33, v92
	s_delay_alu instid0(VALU_DEP_4) | instskip(NEXT) | instid1(VALU_DEP_2)
	v_dual_fmac_f32 v79, v31, v93 :: v_dual_fmac_f32 v72, v25, v107
	v_fma_f32 v111, v41, v91, -v30
	v_mul_f32_e32 v78, v113, v82
	v_fma_f32 v113, v113, v81, -v71
	s_delay_alu instid0(VALU_DEP_2) | instskip(SKIP_4) | instid1(VALU_DEP_3)
	v_dual_mul_f32 v71, v41, v92 :: v_dual_fmac_f32 v78, v34, v81
	ds_load_2addr_b32 v[34:35], v55 offset0:58 offset1:139
	v_mul_f32_e32 v81, v37, v100
	v_fmac_f32_e32 v71, v33, v91
	v_dual_mul_f32 v33, v28, v96 :: v_dual_mul_f32 v28, v27, v102
	v_dual_fmac_f32 v81, v29, v99 :: v_dual_mul_f32 v66, v40, v88
	s_delay_alu instid0(VALU_DEP_2) | instskip(NEXT) | instid1(VALU_DEP_2)
	v_fma_f32 v95, v36, v95, -v33
	v_fmac_f32_e32 v66, v32, v87
	v_mul_f32_e32 v32, v31, v94
	ds_load_2addr_b32 v[30:31], v62 offset0:92 offset1:173
	v_fma_f32 v96, v112, v93, -v32
	v_mul_f32_e32 v32, v26, v98
	s_wait_dscnt 0x1
	v_mul_f32_e32 v84, v34, v98
	v_lshl_add_u32 v112, v117, 2, 0
	s_delay_alu instid0(VALU_DEP_3) | instskip(NEXT) | instid1(VALU_DEP_3)
	v_fma_f32 v80, v34, v97, -v32
	v_fmac_f32_e32 v84, v26, v97
	v_dual_mul_f32 v26, v29, v100 :: v_dual_mul_f32 v97, v35, v102
	s_delay_alu instid0(VALU_DEP_1)
	v_fma_f32 v98, v37, v99, -v26
	v_mul_f32_e32 v26, v24, v104
	v_mul_f32_e32 v24, v22, v106
	s_wait_dscnt 0x0
	v_mul_f32_e32 v77, v30, v106
	v_fmac_f32_e32 v97, v27, v101
	v_fma_f32 v99, v35, v101, -v28
	v_fma_f32 v100, v85, v103, -v26
	s_delay_alu instid0(VALU_DEP_4) | instskip(SKIP_3) | instid1(VALU_DEP_4)
	v_dual_mul_f32 v26, v25, v108 :: v_dual_fmac_f32 v77, v22, v105
	v_fma_f32 v82, v30, v105, -v24
	v_add_f32_e32 v22, v119, v120
	v_add_f32_e32 v24, v69, v76
	v_fma_f32 v101, v86, v107, -v26
	v_mul_f32_e32 v102, v31, v110
	v_mul_f32_e32 v25, v23, v110
	v_fma_f32 v22, -0.5, v22, v20
	v_dual_sub_f32 v26, v42, v4 :: v_dual_add_f32 v27, v21, v69
	v_fmac_f32_e32 v21, -0.5, v24
	v_sub_f32_e32 v24, v121, v64
	v_add_f32_e32 v20, v20, v119
	v_fmac_f32_e32 v102, v23, v109
	v_fma_f32 v103, v31, v109, -v25
	v_fmamk_f32 v23, v26, 0xbf5db3d7, v22
	v_fmac_f32_e32 v22, 0x3f5db3d7, v26
	v_fmamk_f32 v25, v24, 0xbf5db3d7, v21
	v_fmac_f32_e32 v21, 0x3f5db3d7, v24
	v_add_f32_e32 v24, v16, v68
	v_dual_add_f32 v26, v27, v76 :: v_dual_add_f32 v27, v68, v78
	v_add_f32_e32 v20, v20, v120
	ds_load_2addr_b32 v[85:86], v1 offset1:81
	ds_load_2addr_b32 v[87:88], v1 offset0:162 offset1:243
	ds_load_2addr_b32 v[89:90], v50 offset0:68 offset1:149
	;; [unrolled: 1-line block ×4, first 2 shown]
	global_wb scope:SCOPE_SE
	s_wait_dscnt 0x0
	s_barrier_signal -1
	s_barrier_wait -1
	v_add_f32_e32 v24, v24, v78
	v_add_nc_u32_e32 v104, 0x200, v1
	global_inv scope:SCOPE_SE
	ds_store_2addr_b32 v60, v22, v21 offset0:28 offset1:109
	ds_store_2addr_b32 v1, v20, v26 offset1:81
	v_add_f32_e32 v20, v43, v65
	v_fma_f32 v16, -0.5, v27, v16
	v_sub_f32_e32 v21, v122, v113
	ds_store_2addr_b32 v104, v24, v23 offset0:34 offset1:142
	v_dual_add_f32 v22, v17, v43 :: v_dual_fmac_f32 v17, -0.5, v20
	v_sub_f32_e32 v20, v73, v114
	v_lshlrev_b32_e32 v23, 2, v38
	s_wait_alu 0xf1ff
	v_cndmask_b32_e64 v24, 0, 0xca8, s0
	v_fmamk_f32 v26, v21, 0xbf5db3d7, v16
	v_fmac_f32_e32 v16, 0x3f5db3d7, v21
	v_fmamk_f32 v21, v20, 0xbf5db3d7, v17
	v_fmac_f32_e32 v17, 0x3f5db3d7, v20
	v_add3_u32 v105, 0, v24, v23
	v_add_f32_e32 v20, v66, v74
	v_add_f32_e32 v22, v22, v65
	ds_store_b32 v1, v16 offset:2808
	v_add_f32_e32 v16, v71, v79
	ds_store_2addr_b32 v50, v25, v26 offset0:95 offset1:176
	v_fma_f32 v20, -0.5, v20, v18
	v_sub_f32_e32 v23, v83, v75
	ds_store_b32 v105, v22
	v_dual_add_f32 v22, v19, v71 :: v_dual_fmac_f32 v19, -0.5, v16
	v_sub_f32_e32 v16, v111, v96
	v_lshl_add_u32 v25, v0, 2, 0
	v_add_f32_e32 v18, v18, v66
	v_fmamk_f32 v24, v23, 0xbf5db3d7, v20
	v_fmac_f32_e32 v20, 0x3f5db3d7, v23
	v_fmamk_f32 v23, v16, 0xbf5db3d7, v19
	v_fmac_f32_e32 v19, 0x3f5db3d7, v16
	v_add_nc_u32_e32 v106, 0x1400, v25
	v_add_f32_e32 v16, v18, v74
	v_add_f32_e32 v18, v22, v79
	v_dual_add_f32 v22, v70, v84 :: v_dual_add_nc_u32 v107, 0xc00, v25
	v_add_nc_u32_e32 v108, 0x1000, v25
	ds_store_b32 v105, v17 offset:2160
	ds_store_b32 v105, v21 offset:1080
	ds_store_2addr_b32 v106, v20, v19 offset0:124 offset1:205
	ds_store_2addr_b32 v107, v16, v18 offset0:96 offset1:177
	;; [unrolled: 1-line block ×3, first 2 shown]
	v_add_f32_e32 v18, v81, v97
	v_fma_f32 v16, -0.5, v22, v14
	v_mul_u32_u24_e32 v19, 0xca8, v39
	v_lshlrev_b32_e32 v20, 2, v115
	v_dual_add_f32 v14, v14, v70 :: v_dual_sub_f32 v17, v95, v80
	v_add_f32_e32 v21, v15, v81
	v_dual_fmac_f32 v15, -0.5, v18 :: v_dual_sub_f32 v18, v98, v99
	s_delay_alu instid0(VALU_DEP_4) | instskip(NEXT) | instid1(VALU_DEP_4)
	v_add3_u32 v109, 0, v19, v20
	v_add_f32_e32 v14, v14, v84
	v_dual_add_f32 v20, v12, v67 :: v_dual_fmamk_f32 v19, v17, 0xbf5db3d7, v16
	v_fmac_f32_e32 v16, 0x3f5db3d7, v17
	v_fmamk_f32 v17, v18, 0xbf5db3d7, v15
	v_dual_fmac_f32 v15, 0x3f5db3d7, v18 :: v_dual_add_f32 v18, v21, v97
	v_lshl_add_u32 v110, v116, 2, 0
	v_sub_f32_e32 v43, v43, v65
	v_add_f32_e32 v65, v89, v83
	ds_store_b32 v109, v14
	ds_store_b32 v109, v19 offset:1080
	ds_store_b32 v109, v16 offset:2160
	v_add_f32_e32 v19, v20, v77
	v_dual_add_f32 v21, v67, v77 :: v_dual_add_f32 v14, v72, v102
	ds_store_b32 v110, v18 offset:6480
	ds_store_b32 v110, v17 offset:7560
	;; [unrolled: 1-line block ×4, first 2 shown]
	v_add_f32_e32 v15, v42, v4
	v_add_f32_e32 v17, v87, v122
	v_dual_add_f32 v65, v65, v75 :: v_dual_sub_f32 v116, v119, v120
	v_add_f32_e32 v119, v121, v64
	v_fma_f32 v12, -0.5, v21, v12
	v_sub_f32_e32 v16, v100, v82
	v_dual_add_f32 v18, v13, v72 :: v_dual_fmac_f32 v13, -0.5, v14
	v_sub_f32_e32 v14, v101, v103
	v_fma_f32 v117, -0.5, v15, v85
	v_lshl_add_u32 v115, v118, 2, 0
	v_add_f32_e32 v118, v17, v113
	v_add_f32_e32 v120, v86, v121
	v_dual_fmac_f32 v86, -0.5, v119 :: v_dual_sub_f32 v69, v69, v76
	v_dual_add_f32 v113, v122, v113 :: v_dual_fmamk_f32 v20, v16, 0xbf5db3d7, v12
	v_fmac_f32_e32 v12, 0x3f5db3d7, v16
	v_fmamk_f32 v16, v14, 0xbf5db3d7, v13
	v_fmac_f32_e32 v13, 0x3f5db3d7, v14
	v_add_f32_e32 v14, v18, v102
	v_fmamk_f32 v76, v116, 0x3f5db3d7, v117
	v_dual_add_f32 v42, v85, v42 :: v_dual_fmac_f32 v117, 0xbf5db3d7, v116
	v_fmamk_f32 v116, v69, 0x3f5db3d7, v86
	v_fmac_f32_e32 v86, 0xbf5db3d7, v69
	v_sub_f32_e32 v68, v68, v78
	v_fma_f32 v69, -0.5, v113, v87
	ds_store_b32 v112, v12 offset:8640
	ds_store_b32 v115, v13 offset:8640
	;; [unrolled: 1-line block ×5, first 2 shown]
	global_wb scope:SCOPE_SE
	s_wait_dscnt 0x0
	s_barrier_signal -1
	s_barrier_wait -1
	global_inv scope:SCOPE_SE
	ds_load_2addr_b32 v[36:37], v1 offset1:81
	ds_load_2addr_b32 v[38:39], v46 offset0:42 offset1:123
	ds_load_2addr_b32 v[40:41], v47 offset0:84 offset1:165
	;; [unrolled: 1-line block ×14, first 2 shown]
	global_wb scope:SCOPE_SE
	s_wait_dscnt 0x0
	s_barrier_signal -1
	s_barrier_wait -1
	global_inv scope:SCOPE_SE
	ds_store_2addr_b32 v104, v118, v76 offset0:34 offset1:142
	v_add_f32_e32 v76, v73, v114
	v_add_f32_e32 v4, v42, v4
	;; [unrolled: 1-line block ×4, first 2 shown]
	v_fmamk_f32 v64, v68, 0x3f5db3d7, v69
	ds_store_2addr_b32 v60, v117, v86 offset0:28 offset1:109
	v_fmac_f32_e32 v88, -0.5, v76
	ds_store_2addr_b32 v1, v4, v42 offset1:81
	ds_store_2addr_b32 v50, v116, v64 offset0:95 offset1:176
	v_dual_add_f32 v4, v73, v114 :: v_dual_add_f32 v73, v95, v80
	v_fmamk_f32 v42, v43, 0x3f5db3d7, v88
	v_add_f32_e32 v64, v83, v75
	v_dual_fmac_f32 v88, 0xbf5db3d7, v43 :: v_dual_add_f32 v43, v111, v96
	v_sub_f32_e32 v70, v70, v84
	v_fma_f32 v73, -0.5, v73, v91
	v_fmac_f32_e32 v69, 0xbf5db3d7, v68
	v_fma_f32 v64, -0.5, v64, v89
	v_add_f32_e32 v68, v90, v111
	v_fmac_f32_e32 v90, -0.5, v43
	v_dual_sub_f32 v43, v71, v79 :: v_dual_fmamk_f32 v76, v70, 0x3f5db3d7, v73
	v_fmac_f32_e32 v73, 0xbf5db3d7, v70
	v_dual_add_f32 v79, v93, v100 :: v_dual_sub_f32 v66, v66, v74
	v_add_f32_e32 v75, v92, v98
	v_add_f32_e32 v78, v100, v82
	;; [unrolled: 1-line block ×3, first 2 shown]
	v_sub_f32_e32 v67, v67, v77
	v_fmamk_f32 v71, v66, 0x3f5db3d7, v64
	v_fmac_f32_e32 v64, 0xbf5db3d7, v66
	v_add_f32_e32 v66, v68, v96
	v_fmamk_f32 v68, v43, 0x3f5db3d7, v90
	v_fmac_f32_e32 v90, 0xbf5db3d7, v43
	v_add_f32_e32 v43, v98, v99
	v_add_f32_e32 v70, v75, v99
	v_fma_f32 v77, -0.5, v78, v93
	v_add_f32_e32 v78, v94, v101
	v_add_f32_e32 v74, v74, v80
	v_dual_fmac_f32 v92, -0.5, v43 :: v_dual_sub_f32 v43, v81, v97
	s_delay_alu instid0(VALU_DEP_1) | instskip(SKIP_2) | instid1(VALU_DEP_1)
	v_fmamk_f32 v75, v43, 0x3f5db3d7, v92
	v_fmac_f32_e32 v92, 0xbf5db3d7, v43
	v_add_f32_e32 v43, v101, v103
	v_dual_fmac_f32 v94, -0.5, v43 :: v_dual_sub_f32 v43, v72, v102
	v_add_f32_e32 v72, v79, v82
	v_fmamk_f32 v79, v67, 0x3f5db3d7, v77
	v_fmac_f32_e32 v77, 0xbf5db3d7, v67
	s_delay_alu instid0(VALU_DEP_4)
	v_dual_add_f32 v67, v78, v103 :: v_dual_fmamk_f32 v78, v43, 0x3f5db3d7, v94
	v_fmac_f32_e32 v94, 0xbf5db3d7, v43
	ds_store_b32 v1, v69 offset:2808
	ds_store_b32 v105, v4
	ds_store_b32 v105, v42 offset:1080
	ds_store_b32 v105, v88 offset:2160
	ds_store_2addr_b32 v107, v65, v66 offset0:96 offset1:177
	ds_store_2addr_b32 v108, v71, v68 offset0:110 offset1:191
	;; [unrolled: 1-line block ×3, first 2 shown]
	ds_store_b32 v109, v74
	ds_store_b32 v109, v76 offset:1080
	ds_store_b32 v109, v73 offset:2160
	;; [unrolled: 1-line block ×11, first 2 shown]
	global_wb scope:SCOPE_SE
	s_wait_dscnt 0x0
	s_barrier_signal -1
	s_barrier_wait -1
	global_inv scope:SCOPE_SE
	s_and_saveexec_b32 s0, vcc_lo
	s_cbranch_execz .LBB0_13
; %bb.12:
	s_clause 0x1
	global_load_b128 v[64:67], v[10:11], off offset:6400
	global_load_b128 v[68:71], v[6:7], off offset:6400
	v_lshlrev_b32_e32 v4, 1, v59
	s_delay_alu instid0(VALU_DEP_1) | instskip(SKIP_1) | instid1(VALU_DEP_1)
	v_lshlrev_b64_e32 v[6:7], 3, v[4:5]
	v_lshlrev_b32_e32 v4, 1, v58
	v_lshlrev_b64_e32 v[10:11], 3, v[4:5]
	s_delay_alu instid0(VALU_DEP_3) | instskip(SKIP_1) | instid1(VALU_DEP_4)
	v_add_co_u32 v6, vcc_lo, s4, v6
	s_wait_alu 0xfffd
	v_add_co_ci_u32_e32 v7, vcc_lo, s5, v7, vcc_lo
	v_lshlrev_b32_e32 v4, 1, v63
	s_delay_alu instid0(VALU_DEP_4)
	v_add_co_u32 v10, vcc_lo, s4, v10
	s_wait_alu 0xfffd
	v_add_co_ci_u32_e32 v11, vcc_lo, s5, v11, vcc_lo
	s_clause 0x1
	global_load_b128 v[72:75], v[6:7], off offset:6400
	global_load_b128 v[76:79], v[10:11], off offset:6400
	v_lshlrev_b64_e32 v[10:11], 3, v[4:5]
	v_lshlrev_b32_e32 v4, 1, v56
	global_load_b128 v[6:9], v[8:9], off offset:6400
	v_add_co_u32 v10, vcc_lo, s4, v10
	s_wait_alu 0xfffd
	v_add_co_ci_u32_e32 v11, vcc_lo, s5, v11, vcc_lo
	global_load_b128 v[80:83], v[10:11], off offset:6400
	v_lshlrev_b64_e32 v[10:11], 3, v[4:5]
	v_lshlrev_b32_e32 v4, 1, v44
	s_delay_alu instid0(VALU_DEP_2) | instskip(SKIP_1) | instid1(VALU_DEP_3)
	v_add_co_u32 v10, vcc_lo, s4, v10
	s_wait_alu 0xfffd
	v_add_co_ci_u32_e32 v11, vcc_lo, s5, v11, vcc_lo
	global_load_b128 v[84:87], v[10:11], off offset:6400
	s_wait_loadcnt 0x5
	v_mul_f32_e32 v113, v40, v71
	v_lshlrev_b64_e32 v[10:11], 3, v[4:5]
	v_lshlrev_b32_e32 v4, 1, v57
	s_delay_alu instid0(VALU_DEP_2) | instskip(SKIP_1) | instid1(VALU_DEP_3)
	v_add_co_u32 v10, vcc_lo, s4, v10
	s_wait_alu 0xfffd
	v_add_co_ci_u32_e32 v11, vcc_lo, s5, v11, vcc_lo
	global_load_b128 v[88:91], v[10:11], off offset:6400
	v_lshlrev_b64_e32 v[10:11], 3, v[4:5]
	v_lshlrev_b32_e32 v4, 1, v45
	s_delay_alu instid0(VALU_DEP_2) | instskip(SKIP_1) | instid1(VALU_DEP_3)
	v_add_co_u32 v10, vcc_lo, s4, v10
	s_wait_alu 0xfffd
	v_add_co_ci_u32_e32 v11, vcc_lo, s5, v11, vcc_lo
	global_load_b128 v[92:95], v[10:11], off offset:6400
	v_lshlrev_b64_e32 v[10:11], 3, v[4:5]
	v_mul_hi_u32 v4, 0x50e89cc3, v44
	s_delay_alu instid0(VALU_DEP_2) | instskip(SKIP_1) | instid1(VALU_DEP_3)
	v_add_co_u32 v10, vcc_lo, s4, v10
	s_wait_alu 0xfffd
	v_add_co_ci_u32_e32 v11, vcc_lo, s5, v11, vcc_lo
	s_delay_alu instid0(VALU_DEP_3)
	v_lshrrev_b32_e32 v4, 8, v4
	v_add_co_u32 v57, vcc_lo, s8, v2
	global_load_b128 v[96:99], v[10:11], off offset:6400
	ds_load_2addr_b32 v[10:11], v60 offset0:136 offset1:217
	ds_load_2addr_b32 v[42:43], v61 offset0:50 offset1:131
	;; [unrolled: 1-line block ×12, first 2 shown]
	ds_load_2addr_b32 v[44:45], v1 offset1:81
	ds_load_2addr_b32 v[110:111], v46 offset0:42 offset1:123
	ds_load_2addr_b32 v[46:47], v47 offset0:84 offset1:165
	v_mul_hi_u32 v52, 0x50e89cc3, v56
	v_mul_hi_u32 v55, 0x50e89cc3, v58
	v_mul_u32_u24_e32 v4, 0x654, v4
	v_mov_b32_e32 v1, v5
	v_mul_hi_u32 v56, 0x50e89cc3, v59
	s_wait_alu 0xfffd
	v_add_co_ci_u32_e32 v58, vcc_lo, s9, v3, vcc_lo
	v_lshlrev_b64_e32 v[2:3], 3, v[4:5]
	v_lshrrev_b32_e32 v52, 8, v52
	v_lshrrev_b32_e32 v59, 8, v55
	v_lshlrev_b64_e32 v[0:1], 3, v[0:1]
	v_lshrrev_b32_e32 v112, 8, v56
	s_delay_alu instid0(VALU_DEP_4) | instskip(NEXT) | instid1(VALU_DEP_3)
	v_mul_u32_u24_e32 v4, 0x654, v52
	v_add_co_u32 v0, vcc_lo, v57, v0
	s_delay_alu instid0(VALU_DEP_2)
	v_lshlrev_b64_e32 v[55:56], 3, v[4:5]
	v_mul_u32_u24_e32 v4, 0x654, v59
	v_mul_f32_e32 v59, v41, v67
	s_wait_dscnt 0x0
	v_mul_f32_e32 v67, v47, v67
	v_mul_f32_e32 v52, v39, v65
	s_wait_alu 0xfffd
	v_add_co_ci_u32_e32 v1, vcc_lo, v58, v1, vcc_lo
	v_lshlrev_b64_e32 v[57:58], 3, v[4:5]
	v_fmac_f32_e32 v67, v41, v66
	v_mul_u32_u24_e32 v4, 0x654, v112
	v_mul_f32_e32 v65, v111, v65
	v_mul_f32_e32 v71, v46, v71
	;; [unrolled: 1-line block ×3, first 2 shown]
	v_fma_f32 v52, v64, v111, -v52
	v_fma_f32 v47, v66, v47, -v59
	v_mul_f32_e32 v69, v110, v69
	v_fmac_f32_e32 v65, v39, v64
	v_fma_f32 v41, v70, v46, -v113
	v_fmac_f32_e32 v71, v40, v70
	v_fma_f32 v39, v68, v110, -v112
	s_delay_alu instid0(VALU_DEP_4) | instskip(SKIP_1) | instid1(VALU_DEP_3)
	v_dual_fmac_f32 v69, v38, v68 :: v_dual_add_f32 v46, v65, v67
	v_add_f32_e32 v38, v52, v47
	v_dual_sub_f32 v59, v65, v67 :: v_dual_sub_f32 v110, v39, v41
	v_add_f32_e32 v40, v45, v52
	v_add_f32_e32 v64, v37, v65
	;; [unrolled: 1-line block ×3, first 2 shown]
	v_fma_f32 v38, -0.5, v38, v45
	v_sub_f32_e32 v66, v69, v71
	v_add_f32_e32 v68, v44, v39
	v_sub_f32_e32 v52, v52, v47
	v_fma_f32 v45, -0.5, v65, v44
	v_dual_fmamk_f32 v65, v59, 0xbf5db3d7, v38 :: v_dual_add_f32 v70, v69, v71
	v_add_f32_e32 v69, v36, v69
	v_fma_f32 v37, -0.5, v46, v37
	v_fmac_f32_e32 v38, 0x3f5db3d7, v59
	v_add_co_u32 v2, vcc_lo, v0, v2
	s_delay_alu instid0(VALU_DEP_4)
	v_add_f32_e32 v46, v69, v71
	s_wait_loadcnt 0x7
	v_mul_f32_e32 v69, v61, v75
	s_wait_loadcnt 0x5
	v_dual_mul_f32 v71, v18, v9 :: v_dual_add_f32 v40, v40, v47
	v_add_f32_e32 v47, v68, v41
	v_fma_f32 v44, -0.5, v70, v36
	v_dual_mul_f32 v36, v33, v73 :: v_dual_mul_f32 v41, v35, v75
	v_dual_add_f32 v39, v64, v67 :: v_dual_mul_f32 v68, v43, v73
	v_dual_mul_f32 v70, v16, v7 :: v_dual_fmamk_f32 v67, v66, 0xbf5db3d7, v45
	v_mul_f32_e32 v7, v108, v7
	v_mul_f32_e32 v73, v48, v9
	v_fmamk_f32 v64, v52, 0x3f5db3d7, v37
	v_dual_fmac_f32 v45, 0x3f5db3d7, v66 :: v_dual_fmamk_f32 v66, v110, 0x3f5db3d7, v44
	v_fmac_f32_e32 v44, 0xbf5db3d7, v110
	v_fma_f32 v9, v72, v43, -v36
	v_fma_f32 v36, v74, v61, -v41
	v_dual_fmac_f32 v68, v33, v72 :: v_dual_fmac_f32 v69, v35, v74
	v_mul_f32_e32 v33, v32, v77
	v_mul_f32_e32 v35, v34, v79
	v_mul_f32_e32 v41, v42, v77
	v_mul_f32_e32 v43, v60, v79
	v_fmac_f32_e32 v37, 0xbf5db3d7, v52
	v_fma_f32 v52, v6, v108, -v70
	v_fma_f32 v48, v8, v48, -v71
	v_fmac_f32_e32 v7, v16, v6
	v_dual_fmac_f32 v73, v18, v8 :: v_dual_sub_f32 v16, v68, v69
	v_add_f32_e32 v6, v9, v36
	v_add_f32_e32 v8, v11, v9
	v_dual_add_f32 v18, v68, v69 :: v_dual_sub_f32 v59, v9, v36
	v_add_f32_e32 v61, v31, v68
	v_fma_f32 v33, v76, v42, -v33
	v_fma_f32 v35, v78, v60, -v35
	s_wait_loadcnt 0x4
	v_dual_fmac_f32 v41, v32, v76 :: v_dual_mul_f32 v60, v54, v81
	v_dual_fmac_f32 v43, v34, v78 :: v_dual_mul_f32 v68, v101, v83
	v_mul_f32_e32 v32, v27, v81
	v_mul_f32_e32 v34, v29, v83
	v_add_f32_e32 v42, v52, v48
	v_dual_sub_f32 v70, v7, v73 :: v_dual_add_f32 v71, v106, v52
	v_dual_add_f32 v72, v7, v73 :: v_dual_add_f32 v9, v8, v36
	v_sub_f32_e32 v52, v52, v48
	v_add_f32_e32 v74, v12, v7
	v_fma_f32 v7, -0.5, v6, v11
	v_fma_f32 v6, -0.5, v18, v31
	v_add_f32_e32 v8, v61, v69
	v_add_f32_e32 v18, v33, v35
	v_sub_f32_e32 v61, v41, v43
	v_add_f32_e32 v69, v10, v33
	v_dual_add_f32 v75, v41, v43 :: v_dual_fmac_f32 v60, v27, v80
	v_add_f32_e32 v41, v30, v41
	v_fma_f32 v54, v80, v54, -v32
	v_fma_f32 v77, v82, v101, -v34
	s_wait_loadcnt 0x3
	v_dual_fmac_f32 v68, v29, v82 :: v_dual_mul_f32 v79, v100, v87
	v_mul_f32_e32 v27, v26, v85
	v_mul_f32_e32 v29, v28, v87
	v_dual_sub_f32 v76, v33, v35 :: v_dual_add_f32 v33, v74, v73
	v_mul_f32_e32 v78, v53, v85
	v_fma_f32 v32, -0.5, v42, v106
	v_dual_add_f32 v34, v71, v48 :: v_dual_add_f32 v41, v41, v43
	v_fma_f32 v31, -0.5, v72, v12
	v_dual_fmamk_f32 v12, v16, 0xbf5db3d7, v7 :: v_dual_sub_f32 v43, v54, v77
	v_fmac_f32_e32 v7, 0x3f5db3d7, v16
	v_dual_fmamk_f32 v11, v59, 0x3f5db3d7, v6 :: v_dual_add_f32 v42, v69, v35
	v_fma_f32 v36, -0.5, v18, v10
	v_fma_f32 v35, -0.5, v75, v30
	v_add_f32_e32 v10, v54, v77
	v_sub_f32_e32 v16, v60, v68
	v_add_f32_e32 v18, v63, v54
	v_add_f32_e32 v30, v60, v68
	v_fma_f32 v54, v84, v53, -v27
	v_fma_f32 v71, v86, v100, -v29
	v_dual_fmac_f32 v6, 0xbf5db3d7, v59 :: v_dual_fmac_f32 v79, v28, v86
	v_fmac_f32_e32 v78, v26, v84
	v_fmamk_f32 v26, v52, 0x3f5db3d7, v31
	v_fmac_f32_e32 v31, 0xbf5db3d7, v52
	v_fma_f32 v53, -0.5, v10, v63
	v_fmamk_f32 v27, v70, 0xbf5db3d7, v32
	s_wait_alu 0xfffd
	v_add_co_ci_u32_e32 v3, vcc_lo, v1, v3, vcc_lo
	v_add_co_u32 v55, vcc_lo, v0, v55
	v_lshlrev_b64_e32 v[4:5], 3, v[4:5]
	s_wait_alu 0xfffd
	v_add_co_ci_u32_e32 v56, vcc_lo, v1, v56, vcc_lo
	v_add_co_u32 v57, vcc_lo, v0, v57
	s_wait_alu 0xfffd
	v_add_co_ci_u32_e32 v58, vcc_lo, v1, v58, vcc_lo
	v_add_co_u32 v4, vcc_lo, v0, v4
	s_wait_alu 0xfffd
	v_add_co_ci_u32_e32 v5, vcc_lo, v1, v5, vcc_lo
	v_fmamk_f32 v29, v61, 0xbf5db3d7, v36
	s_wait_loadcnt 0x2
	v_mul_f32_e32 v69, v21, v89
	v_mul_f32_e32 v73, v51, v89
	;; [unrolled: 1-line block ×4, first 2 shown]
	v_fmac_f32_e32 v36, 0x3f5db3d7, v61
	v_fma_f32 v52, -0.5, v30, v25
	v_dual_fmac_f32 v73, v21, v88 :: v_dual_add_f32 v10, v54, v71
	v_fma_f32 v51, v88, v51, -v69
	v_add_f32_e32 v30, v62, v54
	v_sub_f32_e32 v54, v54, v71
	v_fma_f32 v63, v90, v105, -v72
	v_fmamk_f32 v69, v16, 0xbf5db3d7, v53
	v_fmac_f32_e32 v53, 0x3f5db3d7, v16
	s_wait_loadcnt 0x1
	v_dual_mul_f32 v21, v20, v93 :: v_dual_add_f32 v48, v25, v60
	v_add_f32_e32 v61, v24, v78
	v_fmac_f32_e32 v32, 0x3f5db3d7, v70
	v_fmamk_f32 v28, v76, 0x3f5db3d7, v35
	v_dual_fmac_f32 v35, 0xbf5db3d7, v76 :: v_dual_add_f32 v60, v18, v77
	v_dual_add_f32 v59, v48, v68 :: v_dual_sub_f32 v18, v78, v79
	v_add_f32_e32 v48, v78, v79
	v_mul_f32_e32 v70, v50, v93
	v_fmamk_f32 v68, v43, 0x3f5db3d7, v52
	v_fma_f32 v25, -0.5, v10, v62
	v_fma_f32 v50, v92, v50, -v21
	v_fmac_f32_e32 v52, 0xbf5db3d7, v43
	v_add_f32_e32 v43, v103, v51
	s_wait_loadcnt 0x0
	v_dual_mul_f32 v77, v109, v97 :: v_dual_add_f32 v62, v30, v71
	v_add_f32_e32 v71, v15, v73
	v_dual_fmac_f32 v74, v23, v90 :: v_dual_fmamk_f32 v21, v18, 0xbf5db3d7, v25
	v_mul_f32_e32 v23, v22, v95
	v_mul_f32_e32 v75, v17, v97
	v_fma_f32 v24, -0.5, v48, v24
	s_delay_alu instid0(VALU_DEP_4)
	v_add_f32_e32 v48, v73, v74
	v_mul_f32_e32 v78, v49, v99
	v_dual_mul_f32 v72, v104, v95 :: v_dual_fmac_f32 v25, 0x3f5db3d7, v18
	v_sub_f32_e32 v30, v73, v74
	v_fma_f32 v73, v94, v104, -v23
	v_add_f32_e32 v23, v43, v63
	v_fma_f32 v15, -0.5, v48, v15
	v_add_f32_e32 v48, v102, v50
	v_add_f32_e32 v10, v51, v63
	v_sub_f32_e32 v51, v51, v63
	v_dual_fmac_f32 v77, v17, v96 :: v_dual_fmac_f32 v78, v19, v98
	v_fmac_f32_e32 v70, v20, v92
	v_fmac_f32_e32 v72, v22, v94
	v_mul_f32_e32 v76, v19, v99
	v_fmamk_f32 v17, v51, 0x3f5db3d7, v15
	v_sub_f32_e32 v19, v77, v78
	v_fmac_f32_e32 v15, 0xbf5db3d7, v51
	v_add_f32_e32 v51, v48, v73
	v_fma_f32 v16, -0.5, v10, v103
	v_add_f32_e32 v10, v50, v73
	v_dual_add_f32 v22, v71, v74 :: v_dual_sub_f32 v43, v70, v72
	v_fma_f32 v74, v98, v49, -v76
	v_sub_f32_e32 v63, v50, v73
	s_delay_alu instid0(VALU_DEP_4) | instskip(SKIP_3) | instid1(VALU_DEP_4)
	v_fma_f32 v49, -0.5, v10, v102
	v_fmamk_f32 v20, v54, 0x3f5db3d7, v24
	v_fmac_f32_e32 v24, 0xbf5db3d7, v54
	v_add_f32_e32 v50, v14, v70
	v_dual_fmamk_f32 v18, v30, 0xbf5db3d7, v16 :: v_dual_fmamk_f32 v71, v43, 0xbf5db3d7, v49
	v_add_f32_e32 v54, v70, v72
	v_fma_f32 v70, v96, v109, -v75
	v_fmac_f32_e32 v16, 0x3f5db3d7, v30
	v_dual_add_f32 v50, v50, v72 :: v_dual_add_f32 v61, v61, v79
	s_delay_alu instid0(VALU_DEP_4) | instskip(NEXT) | instid1(VALU_DEP_4)
	v_fma_f32 v48, -0.5, v54, v14
	v_add_f32_e32 v10, v70, v74
	v_add_f32_e32 v54, v77, v78
	;; [unrolled: 1-line block ×3, first 2 shown]
	v_dual_add_f32 v72, v13, v77 :: v_dual_sub_f32 v75, v70, v74
	s_delay_alu instid0(VALU_DEP_4) | instskip(NEXT) | instid1(VALU_DEP_4)
	v_fma_f32 v14, -0.5, v10, v107
	v_fma_f32 v13, -0.5, v54, v13
	s_delay_alu instid0(VALU_DEP_4) | instskip(NEXT) | instid1(VALU_DEP_4)
	v_add_f32_e32 v73, v30, v74
	v_dual_add_f32 v72, v72, v78 :: v_dual_fmac_f32 v49, 0x3f5db3d7, v43
	v_fmamk_f32 v70, v63, 0x3f5db3d7, v48
	v_fmac_f32_e32 v48, 0xbf5db3d7, v63
	s_clause 0x1
	global_store_b64 v[0:1], v[64:65], off offset:13608
	global_store_b64 v[0:1], v[26:27], off offset:14256
	v_fmamk_f32 v27, v19, 0xbf5db3d7, v14
	v_fmac_f32_e32 v14, 0x3f5db3d7, v19
	v_fmamk_f32 v26, v75, 0x3f5db3d7, v13
	v_fmac_f32_e32 v13, 0xbf5db3d7, v75
	s_clause 0x1b
	global_store_b64 v[0:1], v[46:47], off
	global_store_b64 v[0:1], v[39:40], off offset:648
	global_store_b64 v[0:1], v[33:34], off offset:1296
	;; [unrolled: 1-line block ×27, first 2 shown]
.LBB0_13:
	s_nop 0
	s_sendmsg sendmsg(MSG_DEALLOC_VGPRS)
	s_endpgm
	.section	.rodata,"a",@progbits
	.p2align	6, 0x0
	.amdhsa_kernel fft_rtc_back_len2430_factors_10_3_3_3_3_3_wgs_81_tpt_81_halfLds_sp_ip_CI_unitstride_sbrr_dirReg
		.amdhsa_group_segment_fixed_size 0
		.amdhsa_private_segment_fixed_size 0
		.amdhsa_kernarg_size 88
		.amdhsa_user_sgpr_count 2
		.amdhsa_user_sgpr_dispatch_ptr 0
		.amdhsa_user_sgpr_queue_ptr 0
		.amdhsa_user_sgpr_kernarg_segment_ptr 1
		.amdhsa_user_sgpr_dispatch_id 0
		.amdhsa_user_sgpr_private_segment_size 0
		.amdhsa_wavefront_size32 1
		.amdhsa_uses_dynamic_stack 0
		.amdhsa_enable_private_segment 0
		.amdhsa_system_sgpr_workgroup_id_x 1
		.amdhsa_system_sgpr_workgroup_id_y 0
		.amdhsa_system_sgpr_workgroup_id_z 0
		.amdhsa_system_sgpr_workgroup_info 0
		.amdhsa_system_vgpr_workitem_id 0
		.amdhsa_next_free_vgpr 149
		.amdhsa_next_free_sgpr 32
		.amdhsa_reserve_vcc 1
		.amdhsa_float_round_mode_32 0
		.amdhsa_float_round_mode_16_64 0
		.amdhsa_float_denorm_mode_32 3
		.amdhsa_float_denorm_mode_16_64 3
		.amdhsa_fp16_overflow 0
		.amdhsa_workgroup_processor_mode 1
		.amdhsa_memory_ordered 1
		.amdhsa_forward_progress 0
		.amdhsa_round_robin_scheduling 0
		.amdhsa_exception_fp_ieee_invalid_op 0
		.amdhsa_exception_fp_denorm_src 0
		.amdhsa_exception_fp_ieee_div_zero 0
		.amdhsa_exception_fp_ieee_overflow 0
		.amdhsa_exception_fp_ieee_underflow 0
		.amdhsa_exception_fp_ieee_inexact 0
		.amdhsa_exception_int_div_zero 0
	.end_amdhsa_kernel
	.text
.Lfunc_end0:
	.size	fft_rtc_back_len2430_factors_10_3_3_3_3_3_wgs_81_tpt_81_halfLds_sp_ip_CI_unitstride_sbrr_dirReg, .Lfunc_end0-fft_rtc_back_len2430_factors_10_3_3_3_3_3_wgs_81_tpt_81_halfLds_sp_ip_CI_unitstride_sbrr_dirReg
                                        ; -- End function
	.section	.AMDGPU.csdata,"",@progbits
; Kernel info:
; codeLenInByte = 18668
; NumSgprs: 34
; NumVgprs: 149
; ScratchSize: 0
; MemoryBound: 0
; FloatMode: 240
; IeeeMode: 1
; LDSByteSize: 0 bytes/workgroup (compile time only)
; SGPRBlocks: 4
; VGPRBlocks: 18
; NumSGPRsForWavesPerEU: 34
; NumVGPRsForWavesPerEU: 149
; Occupancy: 9
; WaveLimiterHint : 1
; COMPUTE_PGM_RSRC2:SCRATCH_EN: 0
; COMPUTE_PGM_RSRC2:USER_SGPR: 2
; COMPUTE_PGM_RSRC2:TRAP_HANDLER: 0
; COMPUTE_PGM_RSRC2:TGID_X_EN: 1
; COMPUTE_PGM_RSRC2:TGID_Y_EN: 0
; COMPUTE_PGM_RSRC2:TGID_Z_EN: 0
; COMPUTE_PGM_RSRC2:TIDIG_COMP_CNT: 0
	.text
	.p2alignl 7, 3214868480
	.fill 96, 4, 3214868480
	.type	__hip_cuid_45a264bf63ec377b,@object ; @__hip_cuid_45a264bf63ec377b
	.section	.bss,"aw",@nobits
	.globl	__hip_cuid_45a264bf63ec377b
__hip_cuid_45a264bf63ec377b:
	.byte	0                               ; 0x0
	.size	__hip_cuid_45a264bf63ec377b, 1

	.ident	"AMD clang version 19.0.0git (https://github.com/RadeonOpenCompute/llvm-project roc-6.4.0 25133 c7fe45cf4b819c5991fe208aaa96edf142730f1d)"
	.section	".note.GNU-stack","",@progbits
	.addrsig
	.addrsig_sym __hip_cuid_45a264bf63ec377b
	.amdgpu_metadata
---
amdhsa.kernels:
  - .args:
      - .actual_access:  read_only
        .address_space:  global
        .offset:         0
        .size:           8
        .value_kind:     global_buffer
      - .offset:         8
        .size:           8
        .value_kind:     by_value
      - .actual_access:  read_only
        .address_space:  global
        .offset:         16
        .size:           8
        .value_kind:     global_buffer
      - .actual_access:  read_only
        .address_space:  global
        .offset:         24
        .size:           8
        .value_kind:     global_buffer
      - .offset:         32
        .size:           8
        .value_kind:     by_value
      - .actual_access:  read_only
        .address_space:  global
        .offset:         40
        .size:           8
        .value_kind:     global_buffer
      - .actual_access:  read_only
        .address_space:  global
        .offset:         48
        .size:           8
        .value_kind:     global_buffer
      - .offset:         56
        .size:           4
        .value_kind:     by_value
      - .actual_access:  read_only
        .address_space:  global
        .offset:         64
        .size:           8
        .value_kind:     global_buffer
      - .actual_access:  read_only
        .address_space:  global
        .offset:         72
        .size:           8
        .value_kind:     global_buffer
      - .address_space:  global
        .offset:         80
        .size:           8
        .value_kind:     global_buffer
    .group_segment_fixed_size: 0
    .kernarg_segment_align: 8
    .kernarg_segment_size: 88
    .language:       OpenCL C
    .language_version:
      - 2
      - 0
    .max_flat_workgroup_size: 81
    .name:           fft_rtc_back_len2430_factors_10_3_3_3_3_3_wgs_81_tpt_81_halfLds_sp_ip_CI_unitstride_sbrr_dirReg
    .private_segment_fixed_size: 0
    .sgpr_count:     34
    .sgpr_spill_count: 0
    .symbol:         fft_rtc_back_len2430_factors_10_3_3_3_3_3_wgs_81_tpt_81_halfLds_sp_ip_CI_unitstride_sbrr_dirReg.kd
    .uniform_work_group_size: 1
    .uses_dynamic_stack: false
    .vgpr_count:     149
    .vgpr_spill_count: 0
    .wavefront_size: 32
    .workgroup_processor_mode: 1
amdhsa.target:   amdgcn-amd-amdhsa--gfx1201
amdhsa.version:
  - 1
  - 2
...

	.end_amdgpu_metadata
